;; amdgpu-corpus repo=ROCm/composable_kernel kind=compiled arch=gfx1100 opt=O3
	.text
	.amdgcn_target "amdgcn-amd-amdhsa--gfx1100"
	.amdhsa_code_object_version 6
	.section	.text._ZN2ckL12flush_icacheEv,"axG",@progbits,_ZN2ckL12flush_icacheEv,comdat
	.globl	_ZN2ckL12flush_icacheEv         ; -- Begin function _ZN2ckL12flush_icacheEv
	.p2align	8
	.type	_ZN2ckL12flush_icacheEv,@function
_ZN2ckL12flush_icacheEv:                ; @_ZN2ckL12flush_icacheEv
; %bb.0:
	;;#ASMSTART
	s_icache_inv 
	s_nop 0 
	s_nop 0 
	;; [unrolled: 1-line block ×16, first 2 shown]
	
	;;#ASMEND
	s_endpgm
	.section	.rodata,"a",@progbits
	.p2align	6, 0x0
	.amdhsa_kernel _ZN2ckL12flush_icacheEv
		.amdhsa_group_segment_fixed_size 0
		.amdhsa_private_segment_fixed_size 0
		.amdhsa_kernarg_size 0
		.amdhsa_user_sgpr_count 15
		.amdhsa_user_sgpr_dispatch_ptr 0
		.amdhsa_user_sgpr_queue_ptr 0
		.amdhsa_user_sgpr_kernarg_segment_ptr 0
		.amdhsa_user_sgpr_dispatch_id 0
		.amdhsa_user_sgpr_private_segment_size 0
		.amdhsa_wavefront_size32 1
		.amdhsa_uses_dynamic_stack 0
		.amdhsa_enable_private_segment 0
		.amdhsa_system_sgpr_workgroup_id_x 1
		.amdhsa_system_sgpr_workgroup_id_y 0
		.amdhsa_system_sgpr_workgroup_id_z 0
		.amdhsa_system_sgpr_workgroup_info 0
		.amdhsa_system_vgpr_workitem_id 0
		.amdhsa_next_free_vgpr 1
		.amdhsa_next_free_sgpr 1
		.amdhsa_reserve_vcc 0
		.amdhsa_float_round_mode_32 0
		.amdhsa_float_round_mode_16_64 0
		.amdhsa_float_denorm_mode_32 3
		.amdhsa_float_denorm_mode_16_64 3
		.amdhsa_dx10_clamp 1
		.amdhsa_ieee_mode 1
		.amdhsa_fp16_overflow 0
		.amdhsa_workgroup_processor_mode 1
		.amdhsa_memory_ordered 1
		.amdhsa_forward_progress 0
		.amdhsa_shared_vgpr_count 0
		.amdhsa_exception_fp_ieee_invalid_op 0
		.amdhsa_exception_fp_denorm_src 0
		.amdhsa_exception_fp_ieee_div_zero 0
		.amdhsa_exception_fp_ieee_overflow 0
		.amdhsa_exception_fp_ieee_underflow 0
		.amdhsa_exception_fp_ieee_inexact 0
		.amdhsa_exception_int_div_zero 0
	.end_amdhsa_kernel
	.section	.text._ZN2ckL12flush_icacheEv,"axG",@progbits,_ZN2ckL12flush_icacheEv,comdat
.Lfunc_end0:
	.size	_ZN2ckL12flush_icacheEv, .Lfunc_end0-_ZN2ckL12flush_icacheEv
                                        ; -- End function
	.section	.AMDGPU.csdata,"",@progbits
; Kernel info:
; codeLenInByte = 344
; NumSgprs: 0
; NumVgprs: 0
; ScratchSize: 0
; MemoryBound: 0
; FloatMode: 240
; IeeeMode: 1
; LDSByteSize: 0 bytes/workgroup (compile time only)
; SGPRBlocks: 0
; VGPRBlocks: 0
; NumSGPRsForWavesPerEU: 1
; NumVGPRsForWavesPerEU: 1
; Occupancy: 16
; WaveLimiterHint : 0
; COMPUTE_PGM_RSRC2:SCRATCH_EN: 0
; COMPUTE_PGM_RSRC2:USER_SGPR: 15
; COMPUTE_PGM_RSRC2:TRAP_HANDLER: 0
; COMPUTE_PGM_RSRC2:TGID_X_EN: 1
; COMPUTE_PGM_RSRC2:TGID_Y_EN: 0
; COMPUTE_PGM_RSRC2:TGID_Z_EN: 0
; COMPUTE_PGM_RSRC2:TIDIG_COMP_CNT: 0
	.text
	.p2align	2                               ; -- Begin function _ZN2ck28GridwiseGemmDl_km_kn_mn_v1r3ILi256EfffLNS_25InMemoryDataOperationEnumE0ENS_16TensorDescriptorINS_5TupleIJNS_5EmbedINS3_IJiiEEENS3_IJNS_17integral_constantIiLi1EEEiEEELb0EEENS_7UnMergeINS3_IJiS7_EEELb0EEENS_11PassThroughIiEEEEENS3_IJNS_8SequenceIJLi0EEEENSG_IJLi2EEEENSG_IJLi1EEEEEEENS3_IJNSG_IJLi1ELi2EEEENSG_IJLi3ELi4EEEENSG_IJLi5EEEEEEENSG_IJLi3ELi5ELi4EEEElEENS2_INS3_IJNS4_IS5_SB_Lb0EEESC_SE_EEENS3_IJSH_SJ_SI_EEESO_SP_lEENS2_INS3_IJSR_SE_SE_EEEST_NS3_IJSL_NSG_IJLi3EEEENSG_IJLi4EEEEEEESM_lEELi128ELi128ELi16ELi1ELi4ELi4ELi1ENSG_IJLi8ELi2EEEES10_NSG_IJLi2ELi1ELi4ELi1EEEENSG_IJLi8ELi1ELi32ELi1EEEENSG_IJLi0ELi3ELi1ELi2EEEES13_NSG_IJLi1ELi1ELi4ELi1EEEES13_S14_S11_S12_S13_S13_S14_S13_S14_NSG_IJLi0ELi1ELi2ELi3ELi4ELi5EEEELi5ELi4EE3RunILb1ELb1EEEvPKfS19_PfS1A_RKNS2_INS3_IJS9_SC_SE_SE_NSA_INS3_IJiNS6_IiLi128EEEEEELb0EEENSD_IS7_EEEEENS3_IJSH_SI_SJ_SW_SN_SX_EEENS3_IJSL_SM_SN_NSG_IJLi6EEEENSG_IJLi7ELi8EEEENSG_IJLi9EEEEEEENSG_IJLi6ELi7ELi8ELi9EEEElEERKNS2_INS3_IJSR_SC_SE_SE_S1D_S1E_EEENS3_IJSH_SJ_SI_SW_SN_SX_EEES1K_S1L_lEERKNS2_INS3_IJSR_SE_SE_NSA_INS3_IJiNS6_IiLi2EEENS6_IiLi64EEEEEELb0EEES1X_EEENS3_IJSH_SJ_SI_SW_SX_EEENS3_IJSL_SW_SX_NSG_IJLi5ELi6ELi7EEEENSG_IJLi8ELi9ELi10EEEEEEENSG_IJLi5ELi6ELi7ELi8ELi9ELi10EEEElEERKNS_31BlockToCTileMap_M00_N00_M01_N01ILi128ELi128ESZ_Lb0EEENS6_IbXT_EEENS6_IbXT0_EEE
	.type	_ZN2ck28GridwiseGemmDl_km_kn_mn_v1r3ILi256EfffLNS_25InMemoryDataOperationEnumE0ENS_16TensorDescriptorINS_5TupleIJNS_5EmbedINS3_IJiiEEENS3_IJNS_17integral_constantIiLi1EEEiEEELb0EEENS_7UnMergeINS3_IJiS7_EEELb0EEENS_11PassThroughIiEEEEENS3_IJNS_8SequenceIJLi0EEEENSG_IJLi2EEEENSG_IJLi1EEEEEEENS3_IJNSG_IJLi1ELi2EEEENSG_IJLi3ELi4EEEENSG_IJLi5EEEEEEENSG_IJLi3ELi5ELi4EEEElEENS2_INS3_IJNS4_IS5_SB_Lb0EEESC_SE_EEENS3_IJSH_SJ_SI_EEESO_SP_lEENS2_INS3_IJSR_SE_SE_EEEST_NS3_IJSL_NSG_IJLi3EEEENSG_IJLi4EEEEEEESM_lEELi128ELi128ELi16ELi1ELi4ELi4ELi1ENSG_IJLi8ELi2EEEES10_NSG_IJLi2ELi1ELi4ELi1EEEENSG_IJLi8ELi1ELi32ELi1EEEENSG_IJLi0ELi3ELi1ELi2EEEES13_NSG_IJLi1ELi1ELi4ELi1EEEES13_S14_S11_S12_S13_S13_S14_S13_S14_NSG_IJLi0ELi1ELi2ELi3ELi4ELi5EEEELi5ELi4EE3RunILb1ELb1EEEvPKfS19_PfS1A_RKNS2_INS3_IJS9_SC_SE_SE_NSA_INS3_IJiNS6_IiLi128EEEEEELb0EEENSD_IS7_EEEEENS3_IJSH_SI_SJ_SW_SN_SX_EEENS3_IJSL_SM_SN_NSG_IJLi6EEEENSG_IJLi7ELi8EEEENSG_IJLi9EEEEEEENSG_IJLi6ELi7ELi8ELi9EEEElEERKNS2_INS3_IJSR_SC_SE_SE_S1D_S1E_EEENS3_IJSH_SJ_SI_SW_SN_SX_EEES1K_S1L_lEERKNS2_INS3_IJSR_SE_SE_NSA_INS3_IJiNS6_IiLi2EEENS6_IiLi64EEEEEELb0EEES1X_EEENS3_IJSH_SJ_SI_SW_SX_EEENS3_IJSL_SW_SX_NSG_IJLi5ELi6ELi7EEEENSG_IJLi8ELi9ELi10EEEEEEENSG_IJLi5ELi6ELi7ELi8ELi9ELi10EEEElEERKNS_31BlockToCTileMap_M00_N00_M01_N01ILi128ELi128ESZ_Lb0EEENS6_IbXT_EEENS6_IbXT0_EEE,@function
_ZN2ck28GridwiseGemmDl_km_kn_mn_v1r3ILi256EfffLNS_25InMemoryDataOperationEnumE0ENS_16TensorDescriptorINS_5TupleIJNS_5EmbedINS3_IJiiEEENS3_IJNS_17integral_constantIiLi1EEEiEEELb0EEENS_7UnMergeINS3_IJiS7_EEELb0EEENS_11PassThroughIiEEEEENS3_IJNS_8SequenceIJLi0EEEENSG_IJLi2EEEENSG_IJLi1EEEEEEENS3_IJNSG_IJLi1ELi2EEEENSG_IJLi3ELi4EEEENSG_IJLi5EEEEEEENSG_IJLi3ELi5ELi4EEEElEENS2_INS3_IJNS4_IS5_SB_Lb0EEESC_SE_EEENS3_IJSH_SJ_SI_EEESO_SP_lEENS2_INS3_IJSR_SE_SE_EEEST_NS3_IJSL_NSG_IJLi3EEEENSG_IJLi4EEEEEEESM_lEELi128ELi128ELi16ELi1ELi4ELi4ELi1ENSG_IJLi8ELi2EEEES10_NSG_IJLi2ELi1ELi4ELi1EEEENSG_IJLi8ELi1ELi32ELi1EEEENSG_IJLi0ELi3ELi1ELi2EEEES13_NSG_IJLi1ELi1ELi4ELi1EEEES13_S14_S11_S12_S13_S13_S14_S13_S14_NSG_IJLi0ELi1ELi2ELi3ELi4ELi5EEEELi5ELi4EE3RunILb1ELb1EEEvPKfS19_PfS1A_RKNS2_INS3_IJS9_SC_SE_SE_NSA_INS3_IJiNS6_IiLi128EEEEEELb0EEENSD_IS7_EEEEENS3_IJSH_SI_SJ_SW_SN_SX_EEENS3_IJSL_SM_SN_NSG_IJLi6EEEENSG_IJLi7ELi8EEEENSG_IJLi9EEEEEEENSG_IJLi6ELi7ELi8ELi9EEEElEERKNS2_INS3_IJSR_SC_SE_SE_S1D_S1E_EEENS3_IJSH_SJ_SI_SW_SN_SX_EEES1K_S1L_lEERKNS2_INS3_IJSR_SE_SE_NSA_INS3_IJiNS6_IiLi2EEENS6_IiLi64EEEEEELb0EEES1X_EEENS3_IJSH_SJ_SI_SW_SX_EEENS3_IJSL_SW_SX_NSG_IJLi5ELi6ELi7EEEENSG_IJLi8ELi9ELi10EEEEEEENSG_IJLi5ELi6ELi7ELi8ELi9ELi10EEEElEERKNS_31BlockToCTileMap_M00_N00_M01_N01ILi128ELi128ESZ_Lb0EEENS6_IbXT_EEENS6_IbXT0_EEE: ; @_ZN2ck28GridwiseGemmDl_km_kn_mn_v1r3ILi256EfffLNS_25InMemoryDataOperationEnumE0ENS_16TensorDescriptorINS_5TupleIJNS_5EmbedINS3_IJiiEEENS3_IJNS_17integral_constantIiLi1EEEiEEELb0EEENS_7UnMergeINS3_IJiS7_EEELb0EEENS_11PassThroughIiEEEEENS3_IJNS_8SequenceIJLi0EEEENSG_IJLi2EEEENSG_IJLi1EEEEEEENS3_IJNSG_IJLi1ELi2EEEENSG_IJLi3ELi4EEEENSG_IJLi5EEEEEEENSG_IJLi3ELi5ELi4EEEElEENS2_INS3_IJNS4_IS5_SB_Lb0EEESC_SE_EEENS3_IJSH_SJ_SI_EEESO_SP_lEENS2_INS3_IJSR_SE_SE_EEEST_NS3_IJSL_NSG_IJLi3EEEENSG_IJLi4EEEEEEESM_lEELi128ELi128ELi16ELi1ELi4ELi4ELi1ENSG_IJLi8ELi2EEEES10_NSG_IJLi2ELi1ELi4ELi1EEEENSG_IJLi8ELi1ELi32ELi1EEEENSG_IJLi0ELi3ELi1ELi2EEEES13_NSG_IJLi1ELi1ELi4ELi1EEEES13_S14_S11_S12_S13_S13_S14_S13_S14_NSG_IJLi0ELi1ELi2ELi3ELi4ELi5EEEELi5ELi4EE3RunILb1ELb1EEEvPKfS19_PfS1A_RKNS2_INS3_IJS9_SC_SE_SE_NSA_INS3_IJiNS6_IiLi128EEEEEELb0EEENSD_IS7_EEEEENS3_IJSH_SI_SJ_SW_SN_SX_EEENS3_IJSL_SM_SN_NSG_IJLi6EEEENSG_IJLi7ELi8EEEENSG_IJLi9EEEEEEENSG_IJLi6ELi7ELi8ELi9EEEElEERKNS2_INS3_IJSR_SC_SE_SE_S1D_S1E_EEENS3_IJSH_SJ_SI_SW_SN_SX_EEES1K_S1L_lEERKNS2_INS3_IJSR_SE_SE_NSA_INS3_IJiNS6_IiLi2EEENS6_IiLi64EEEEEELb0EEES1X_EEENS3_IJSH_SJ_SI_SW_SX_EEENS3_IJSL_SW_SX_NSG_IJLi5ELi6ELi7EEEENSG_IJLi8ELi9ELi10EEEEEEENSG_IJLi5ELi6ELi7ELi8ELi9ELi10EEEElEERKNS_31BlockToCTileMap_M00_N00_M01_N01ILi128ELi128ESZ_Lb0EEENS6_IbXT_EEENS6_IbXT0_EEE
; %bb.0:
	s_waitcnt vmcnt(0) expcnt(0) lgkmcnt(0)
	s_clause 0x4
	flat_load_b128 v[16:19], v[12:13] offset:68
	flat_load_b128 v[27:30], v[12:13] offset:88
	;; [unrolled: 1-line block ×3, first 2 shown]
	flat_load_b32 v20, v[12:13] offset:20
	flat_load_b32 v21, v[12:13] offset:36
	;; [unrolled: 1-line block ×6, first 2 shown]
	flat_load_b64 v[12:13], v[10:11] offset:56
	v_dual_mov_b32 v15, v3 :: v_dual_mov_b32 v14, v2
	v_and_b32_e32 v25, 0x3ff, v31
	s_mov_b32 s3, 0
	s_mov_b32 s8, exec_lo
	s_waitcnt vmcnt(9) lgkmcnt(9)
	v_mul_hi_u32 v2, v19, s12
	s_delay_alu instid0(VALU_DEP_1) | instskip(SKIP_1) | instid1(VALU_DEP_1)
	v_add_nc_u32_e32 v2, s12, v2
	s_waitcnt vmcnt(8) lgkmcnt(8)
	v_lshrrev_b32_e32 v2, v30, v2
	s_delay_alu instid0(VALU_DEP_1) | instskip(SKIP_2) | instid1(VALU_DEP_2)
	v_mul_hi_u32 v3, v2, v18
	s_waitcnt vmcnt(7) lgkmcnt(7)
	v_mul_lo_u32 v18, v2, v36
	v_add_nc_u32_e32 v3, v2, v3
	s_waitcnt vmcnt(0) lgkmcnt(0)
	s_delay_alu instid0(VALU_DEP_1) | instskip(NEXT) | instid1(VALU_DEP_1)
	v_lshrrev_b32_e32 v13, v29, v3
	v_mul_hi_u32 v3, v13, v17
	v_mul_lo_u32 v17, v13, v35
	s_delay_alu instid0(VALU_DEP_2) | instskip(NEXT) | instid1(VALU_DEP_2)
	v_add_nc_u32_e32 v3, v13, v3
	v_sub_nc_u32_e32 v2, v2, v17
	s_delay_alu instid0(VALU_DEP_2) | instskip(NEXT) | instid1(VALU_DEP_1)
	v_lshrrev_b32_e32 v3, v28, v3
	v_mul_hi_u32 v16, v3, v16
	v_mul_lo_u32 v19, v3, v34
	s_delay_alu instid0(VALU_DEP_2) | instskip(NEXT) | instid1(VALU_DEP_2)
	v_add_nc_u32_e32 v16, v3, v16
	v_sub_nc_u32_e32 v13, v13, v19
	s_delay_alu instid0(VALU_DEP_2) | instskip(NEXT) | instid1(VALU_DEP_1)
	v_lshrrev_b32_e32 v16, v27, v16
	v_mul_lo_u32 v16, v16, v33
	s_delay_alu instid0(VALU_DEP_1) | instskip(SKIP_1) | instid1(VALU_DEP_1)
	v_sub_nc_u32_e32 v24, v3, v16
	v_sub_nc_u32_e32 v3, s12, v18
	v_mad_u64_u32 v[16:17], null, v24, v20, v[2:3]
	v_mad_u64_u32 v[17:18], null, v13, v21, v[3:4]
	v_lshlrev_b32_e32 v13, 2, v25
	v_lshrrev_b32_e32 v2, 4, v25
	v_lshrrev_b32_e32 v18, 5, v25
	v_lshlrev_b32_e32 v3, 1, v25
	v_readfirstlane_b32 s0, v16
	v_and_b32_e32 v35, 0x7c, v13
	v_readfirstlane_b32 s2, v17
	v_and_b32_e32 v34, 14, v2
	v_lshlrev_b32_e32 v16, 6, v18
	s_lshl_b32 s1, s0, 7
	v_and_b32_e32 v19, 0x1f8, v3
	s_lshl_b32 s2, s2, 7
	v_and_b32_e32 v20, 0x1fc, v3
	v_or_b32_e32 v2, s1, v35
	v_or_b32_e32 v3, s2, v35
	v_sub_nc_u32_e32 v21, v19, v16
	s_delay_alu instid0(VALU_DEP_2) | instskip(SKIP_4) | instid1(VALU_DEP_4)
	v_mad_u64_u32 v[16:17], null, v22, v34, v[2:3]
	v_sub_nc_u32_e32 v2, v20, v19
	v_mad_u64_u32 v[30:31], null, v32, v34, v[3:4]
	v_mov_b32_e32 v3, 0x31004000
	v_and_or_b32 v39, v13, 4, v21
	v_lshl_add_u32 v164, v18, 3, v2
	v_lshlrev_b32_e32 v2, 2, v23
	v_lshlrev_b32_e32 v13, 2, v16
.LBB1_1:                                ; =>This Inner Loop Header: Depth=1
	v_readfirstlane_b32 s4, v0
	v_readfirstlane_b32 s5, v1
	s_delay_alu instid0(VALU_DEP_4) | instskip(SKIP_1) | instid1(VALU_DEP_3)
	v_readfirstlane_b32 s6, v2
	v_readfirstlane_b32 s7, v3
	v_cmp_eq_u64_e32 vcc_lo, s[4:5], v[0:1]
	s_delay_alu instid0(VALU_DEP_2) | instskip(NEXT) | instid1(VALU_DEP_1)
	v_cmp_eq_u64_e64 s0, s[6:7], v[2:3]
	s_and_b32 s0, vcc_lo, s0
	s_delay_alu instid0(SALU_CYCLE_1)
	s_and_saveexec_b32 s0, s0
	buffer_load_b128 v[18:21], v13, s[4:7], 0 offen
                                        ; implicit-def: $vgpr13
	s_xor_b32 exec_lo, exec_lo, s0
	s_cbranch_execnz .LBB1_1
; %bb.2:
	s_mov_b32 exec_lo, s8
	v_add_nc_u32_e32 v13, v16, v22
	s_mov_b32 s8, exec_lo
	s_delay_alu instid0(VALU_DEP_1)
	v_lshlrev_b32_e32 v16, 2, v13
.LBB1_3:                                ; =>This Inner Loop Header: Depth=1
	v_readfirstlane_b32 s4, v0
	v_readfirstlane_b32 s5, v1
	;; [unrolled: 1-line block ×4, first 2 shown]
	s_delay_alu instid0(VALU_DEP_3) | instskip(NEXT) | instid1(VALU_DEP_2)
	v_cmp_eq_u64_e32 vcc_lo, s[4:5], v[0:1]
	v_cmp_eq_u64_e64 s0, s[6:7], v[2:3]
	s_delay_alu instid0(VALU_DEP_1) | instskip(NEXT) | instid1(SALU_CYCLE_1)
	s_and_b32 s0, vcc_lo, s0
	s_and_saveexec_b32 s0, s0
	buffer_load_b128 v[22:25], v16, s[4:7], 0 offen
                                        ; implicit-def: $vgpr16
	s_xor_b32 exec_lo, exec_lo, s0
	s_cbranch_execnz .LBB1_3
; %bb.4:
	s_mov_b32 exec_lo, s8
	v_dual_mov_b32 v17, 0x31004000 :: v_dual_lshlrev_b32 v16, 2, v26
	v_lshlrev_b32_e32 v31, 2, v30
	s_mov_b32 s8, exec_lo
.LBB1_5:                                ; =>This Inner Loop Header: Depth=1
	v_readfirstlane_b32 s4, v14
	v_readfirstlane_b32 s5, v15
	;; [unrolled: 1-line block ×4, first 2 shown]
	s_delay_alu instid0(VALU_DEP_3) | instskip(NEXT) | instid1(VALU_DEP_2)
	v_cmp_eq_u64_e32 vcc_lo, s[4:5], v[14:15]
	v_cmp_eq_u64_e64 s0, s[6:7], v[16:17]
	s_delay_alu instid0(VALU_DEP_1) | instskip(NEXT) | instid1(SALU_CYCLE_1)
	s_and_b32 s0, vcc_lo, s0
	s_and_saveexec_b32 s0, s0
	buffer_load_b128 v[26:29], v31, s[4:7], 0 offen
                                        ; implicit-def: $vgpr31
	s_xor_b32 exec_lo, exec_lo, s0
	s_cbranch_execnz .LBB1_5
; %bb.6:
	s_mov_b32 exec_lo, s8
	v_add_nc_u32_e32 v38, v30, v32
	s_mov_b32 s8, exec_lo
	s_delay_alu instid0(VALU_DEP_1)
	v_lshlrev_b32_e32 v36, 2, v38
.LBB1_7:                                ; =>This Inner Loop Header: Depth=1
	v_readfirstlane_b32 s4, v14
	v_readfirstlane_b32 s5, v15
	;; [unrolled: 1-line block ×4, first 2 shown]
	s_delay_alu instid0(VALU_DEP_3) | instskip(NEXT) | instid1(VALU_DEP_2)
	v_cmp_eq_u64_e32 vcc_lo, s[4:5], v[14:15]
	v_cmp_eq_u64_e64 s0, s[6:7], v[16:17]
	s_delay_alu instid0(VALU_DEP_1) | instskip(NEXT) | instid1(SALU_CYCLE_1)
	s_and_b32 s0, vcc_lo, s0
	s_and_saveexec_b32 s0, s0
	buffer_load_b128 v[30:33], v36, s[4:7], 0 offen
                                        ; implicit-def: $vgpr36
	s_xor_b32 exec_lo, exec_lo, s0
	s_cbranch_execnz .LBB1_7
; %bb.8:
	s_mov_b32 exec_lo, s8
	v_dual_mov_b32 v128, 0 :: v_dual_lshlrev_b32 v35, 2, v35
	v_dual_mov_b32 v130, 0 :: v_dual_lshlrev_b32 v165, 2, v164
	;; [unrolled: 1-line block ×3, first 2 shown]
	s_delay_alu instid0(VALU_DEP_3)
	v_lshl_or_b32 v167, v34, 9, v35
	v_dual_mov_b32 v131, 0 :: v_dual_mov_b32 v116, 0
	v_dual_mov_b32 v117, 0 :: v_dual_mov_b32 v118, 0
	s_waitcnt vmcnt(3)
	ds_store_b128 v167, v[18:21]
	s_waitcnt vmcnt(2)
	ds_store_b128 v167, v[22:25] offset:512
	s_waitcnt vmcnt(1)
	ds_store_b128 v167, v[26:29] offset:16384
	;; [unrolled: 2-line block ×3, first 2 shown]
	flat_load_b32 v55, v[6:7] offset:32
	v_dual_mov_b32 v119, 0 :: v_dual_mov_b32 v100, 0
	v_dual_mov_b32 v101, 0 :: v_dual_mov_b32 v102, 0
	;; [unrolled: 1-line block ×28, first 2 shown]
	v_or_b32_e32 v178, 0x4000, v167
	v_or_b32_e32 v176, 0x2000, v167
	;; [unrolled: 1-line block ×3, first 2 shown]
	s_mov_b32 s8, 0
	s_waitcnt vmcnt(0) lgkmcnt(0)
	v_subrev_nc_u32_e32 v179, 32, v55
	v_mov_b32_e32 v55, 0
.LBB1_9:                                ; =>This Loop Header: Depth=1
                                        ;     Child Loop BB1_10 Depth 2
                                        ;     Child Loop BB1_12 Depth 2
	;; [unrolled: 1-line block ×8, first 2 shown]
	flat_load_b32 v146, v[6:7] offset:12
	flat_load_b32 v162, v[8:9] offset:8
	s_mov_b32 s9, exec_lo
	s_waitcnt vmcnt(1) lgkmcnt(1)
	v_mad_u64_u32 v[144:145], null, v146, 15, v[13:14]
	s_waitcnt vmcnt(0) lgkmcnt(0)
	v_mad_u64_u32 v[160:161], null, v162, 15, v[38:39]
	s_delay_alu instid0(VALU_DEP_2)
	v_lshlrev_b32_e32 v13, 2, v144
.LBB1_10:                               ;   Parent Loop BB1_9 Depth=1
                                        ; =>  This Inner Loop Header: Depth=2
	v_readfirstlane_b32 s4, v0
	v_readfirstlane_b32 s5, v1
	;; [unrolled: 1-line block ×4, first 2 shown]
	s_delay_alu instid0(VALU_DEP_3) | instskip(NEXT) | instid1(VALU_DEP_2)
	v_cmp_eq_u64_e32 vcc_lo, s[4:5], v[0:1]
	v_cmp_eq_u64_e64 s0, s[6:7], v[2:3]
	s_delay_alu instid0(VALU_DEP_1) | instskip(NEXT) | instid1(SALU_CYCLE_1)
	s_and_b32 s0, vcc_lo, s0
	s_and_saveexec_b32 s0, s0
	buffer_load_b128 v[132:135], v13, s[4:7], 0 offen
                                        ; implicit-def: $vgpr13
	s_xor_b32 exec_lo, exec_lo, s0
	s_cbranch_execnz .LBB1_10
; %bb.11:                               ;   in Loop: Header=BB1_9 Depth=1
	s_mov_b32 exec_lo, s9
	v_add_nc_u32_e32 v13, v146, v144
	s_mov_b32 s9, exec_lo
	s_delay_alu instid0(VALU_DEP_1)
	v_lshlrev_b32_e32 v38, 2, v13
.LBB1_12:                               ;   Parent Loop BB1_9 Depth=1
                                        ; =>  This Inner Loop Header: Depth=2
	v_readfirstlane_b32 s4, v0
	v_readfirstlane_b32 s5, v1
	;; [unrolled: 1-line block ×4, first 2 shown]
	s_delay_alu instid0(VALU_DEP_3) | instskip(NEXT) | instid1(VALU_DEP_2)
	v_cmp_eq_u64_e32 vcc_lo, s[4:5], v[0:1]
	v_cmp_eq_u64_e64 s0, s[6:7], v[2:3]
	s_delay_alu instid0(VALU_DEP_1) | instskip(NEXT) | instid1(SALU_CYCLE_1)
	s_and_b32 s0, vcc_lo, s0
	s_and_saveexec_b32 s0, s0
	buffer_load_b128 v[144:147], v38, s[4:7], 0 offen
                                        ; implicit-def: $vgpr38
	s_xor_b32 exec_lo, exec_lo, s0
	s_cbranch_execnz .LBB1_12
; %bb.13:                               ;   in Loop: Header=BB1_9 Depth=1
	s_mov_b32 exec_lo, s9
	v_lshlrev_b32_e32 v38, 2, v160
	s_mov_b32 s9, exec_lo
.LBB1_14:                               ;   Parent Loop BB1_9 Depth=1
                                        ; =>  This Inner Loop Header: Depth=2
	v_readfirstlane_b32 s4, v14
	v_readfirstlane_b32 s5, v15
	;; [unrolled: 1-line block ×4, first 2 shown]
	s_delay_alu instid0(VALU_DEP_3) | instskip(NEXT) | instid1(VALU_DEP_2)
	v_cmp_eq_u64_e32 vcc_lo, s[4:5], v[14:15]
	v_cmp_eq_u64_e64 s0, s[6:7], v[16:17]
	s_delay_alu instid0(VALU_DEP_1) | instskip(NEXT) | instid1(SALU_CYCLE_1)
	s_and_b32 s0, vcc_lo, s0
	s_and_saveexec_b32 s0, s0
	buffer_load_b128 v[148:151], v38, s[4:7], 0 offen
                                        ; implicit-def: $vgpr38
	s_xor_b32 exec_lo, exec_lo, s0
	s_cbranch_execnz .LBB1_14
; %bb.15:                               ;   in Loop: Header=BB1_9 Depth=1
	s_mov_b32 exec_lo, s9
	v_add_nc_u32_e32 v38, v162, v160
	s_mov_b32 s9, exec_lo
	s_delay_alu instid0(VALU_DEP_1)
	v_lshlrev_b32_e32 v180, 2, v38
.LBB1_16:                               ;   Parent Loop BB1_9 Depth=1
                                        ; =>  This Inner Loop Header: Depth=2
	v_readfirstlane_b32 s4, v14
	v_readfirstlane_b32 s5, v15
	;; [unrolled: 1-line block ×4, first 2 shown]
	s_delay_alu instid0(VALU_DEP_3) | instskip(NEXT) | instid1(VALU_DEP_2)
	v_cmp_eq_u64_e32 vcc_lo, s[4:5], v[14:15]
	v_cmp_eq_u64_e64 s0, s[6:7], v[16:17]
	s_delay_alu instid0(VALU_DEP_1) | instskip(NEXT) | instid1(SALU_CYCLE_1)
	s_and_b32 s0, vcc_lo, s0
	s_and_saveexec_b32 s0, s0
	buffer_load_b128 v[160:163], v180, s[4:7], 0 offen
                                        ; implicit-def: $vgpr180
	s_xor_b32 exec_lo, exec_lo, s0
	s_cbranch_execnz .LBB1_16
; %bb.17:                               ;   in Loop: Header=BB1_9 Depth=1
	s_mov_b32 exec_lo, s9
	s_waitcnt vmcnt(0) lgkmcnt(0)
	s_waitcnt_vscnt null, 0x0
	s_barrier
	ds_load_b128 v[180:183], v165
	ds_load_b128 v[192:195], v166 offset:16384
	ds_load_b128 v[196:199], v166 offset:16640
	;; [unrolled: 1-line block ×3, first 2 shown]
	s_mov_b32 s9, exec_lo
	s_waitcnt lgkmcnt(2)
	;;#ASMSTART
	
             v_fmac_f32 v128, v180, v192 
             
	;;#ASMEND
	;;#ASMSTART
	
             v_fmac_f32 v129, v180, v193 
             
	;;#ASMEND
	;;#ASMSTART
	
             v_fmac_f32 v130, v180, v194 
             
	;;#ASMEND
	;;#ASMSTART
	
             v_fmac_f32 v131, v180, v195 
             
	;;#ASMEND
	;;#ASMSTART
	
             v_fmac_f32 v100, v181, v192 
             
	;;#ASMEND
	;;#ASMSTART
	
             v_fmac_f32 v101, v181, v193 
             
	;;#ASMEND
	;;#ASMSTART
	
             v_fmac_f32 v102, v181, v194 
             
	;;#ASMEND
	;;#ASMSTART
	
             v_fmac_f32 v103, v181, v195 
             
	;;#ASMEND
	;;#ASMSTART
	
             v_fmac_f32 v96, v182, v192 
             
	;;#ASMEND
	;;#ASMSTART
	
             v_fmac_f32 v97, v182, v193 
             
	;;#ASMEND
	;;#ASMSTART
	
             v_fmac_f32 v98, v182, v194 
             
	;;#ASMEND
	;;#ASMSTART
	
             v_fmac_f32 v99, v182, v195 
             
	;;#ASMEND
	;;#ASMSTART
	
             v_fmac_f32 v68, v183, v192 
             
	;;#ASMEND
	;;#ASMSTART
	
             v_fmac_f32 v69, v183, v193 
             
	;;#ASMEND
	;;#ASMSTART
	
             v_fmac_f32 v70, v183, v194 
             
	;;#ASMEND
	;;#ASMSTART
	
             v_fmac_f32 v71, v183, v195 
             
	;;#ASMEND
	s_waitcnt lgkmcnt(1)
	;;#ASMSTART
	
             v_fmac_f32 v116, v180, v196 
             
	;;#ASMEND
	;;#ASMSTART
	
             v_fmac_f32 v117, v180, v197 
             
	;;#ASMEND
	;; [unrolled: 5-line block ×16, first 2 shown]
	ds_load_b128 v[180:183], v165 offset:512
	s_waitcnt lgkmcnt(1)
	;;#ASMSTART
	
             v_fmac_f32 v18, v208, v192 
             
	;;#ASMEND
	;;#ASMSTART
	
             v_fmac_f32 v19, v208, v193 
             
	;;#ASMEND
	;; [unrolled: 5-line block ×16, first 2 shown]
	ds_load_b128 v[192:195], v166 offset:16896
	;;#ASMSTART
	
             v_fmac_f32 v22, v208, v196 
             
	;;#ASMEND
	;;#ASMSTART
	
             v_fmac_f32 v23, v208, v197 
             
	;;#ASMEND
	;; [unrolled: 5-line block ×16, first 2 shown]
	ds_load_b128 v[196:199], v166 offset:17152
	ds_load_b128 v[208:211], v165 offset:768
	s_waitcnt lgkmcnt(2)
	;;#ASMSTART
	
             v_fmac_f32 v128, v180, v192 
             
	;;#ASMEND
	;;#ASMSTART
	
             v_fmac_f32 v129, v180, v193 
             
	;;#ASMEND
	;; [unrolled: 5-line block ×16, first 2 shown]
	s_waitcnt lgkmcnt(1)
	;;#ASMSTART
	
             v_fmac_f32 v116, v180, v196 
             
	;;#ASMEND
	;;#ASMSTART
	
             v_fmac_f32 v117, v180, v197 
             
	;;#ASMEND
	;; [unrolled: 5-line block ×16, first 2 shown]
	ds_load_b128 v[180:183], v165 offset:1024
	s_waitcnt lgkmcnt(1)
	;;#ASMSTART
	
             v_fmac_f32 v18, v208, v192 
             
	;;#ASMEND
	;;#ASMSTART
	
             v_fmac_f32 v19, v208, v193 
             
	;;#ASMEND
	;; [unrolled: 5-line block ×16, first 2 shown]
	ds_load_b128 v[192:195], v166 offset:17408
	;;#ASMSTART
	
             v_fmac_f32 v22, v208, v196 
             
	;;#ASMEND
	;;#ASMSTART
	
             v_fmac_f32 v23, v208, v197 
             
	;;#ASMEND
	;;#ASMSTART
	
             v_fmac_f32 v24, v208, v198 
             
	;;#ASMEND
	;;#ASMSTART
	
             v_fmac_f32 v25, v208, v199 
             
	;;#ASMEND
	;;#ASMSTART
	
             v_fmac_f32 v26, v209, v196 
             
	;;#ASMEND
	;;#ASMSTART
	
             v_fmac_f32 v27, v209, v197 
             
	;;#ASMEND
	;;#ASMSTART
	
             v_fmac_f32 v28, v209, v198 
             
	;;#ASMEND
	;;#ASMSTART
	
             v_fmac_f32 v29, v209, v199 
             
	;;#ASMEND
	;;#ASMSTART
	
             v_fmac_f32 v48, v210, v196 
             
	;;#ASMEND
	;;#ASMSTART
	
             v_fmac_f32 v49, v210, v197 
             
	;;#ASMEND
	;;#ASMSTART
	
             v_fmac_f32 v50, v210, v198 
             
	;;#ASMEND
	;;#ASMSTART
	
             v_fmac_f32 v51, v210, v199 
             
	;;#ASMEND
	;;#ASMSTART
	
             v_fmac_f32 v52, v211, v196 
             
	;;#ASMEND
	;;#ASMSTART
	
             v_fmac_f32 v53, v211, v197 
             
	;;#ASMEND
	;;#ASMSTART
	
             v_fmac_f32 v54, v211, v198 
             
	;;#ASMEND
	;;#ASMSTART
	
             v_fmac_f32 v55, v211, v199 
             
	;;#ASMEND
	ds_load_b128 v[196:199], v166 offset:17664
	ds_load_b128 v[208:211], v165 offset:1280
	s_waitcnt lgkmcnt(2)
	;;#ASMSTART
	
             v_fmac_f32 v128, v180, v192 
             
	;;#ASMEND
	;;#ASMSTART
	
             v_fmac_f32 v129, v180, v193 
             
	;;#ASMEND
	;; [unrolled: 5-line block ×16, first 2 shown]
	s_waitcnt lgkmcnt(1)
	;;#ASMSTART
	
             v_fmac_f32 v116, v180, v196 
             
	;;#ASMEND
	;;#ASMSTART
	
             v_fmac_f32 v117, v180, v197 
             
	;;#ASMEND
	;; [unrolled: 5-line block ×16, first 2 shown]
	ds_load_b128 v[180:183], v165 offset:1536
	s_waitcnt lgkmcnt(1)
	;;#ASMSTART
	
             v_fmac_f32 v18, v208, v192 
             
	;;#ASMEND
	;;#ASMSTART
	
             v_fmac_f32 v19, v208, v193 
             
	;;#ASMEND
	;; [unrolled: 5-line block ×16, first 2 shown]
	ds_load_b128 v[192:195], v166 offset:17920
	;;#ASMSTART
	
             v_fmac_f32 v22, v208, v196 
             
	;;#ASMEND
	;;#ASMSTART
	
             v_fmac_f32 v23, v208, v197 
             
	;;#ASMEND
	;; [unrolled: 5-line block ×16, first 2 shown]
	ds_load_b128 v[196:199], v166 offset:18176
	ds_load_b128 v[208:211], v165 offset:1792
	s_waitcnt lgkmcnt(2)
	;;#ASMSTART
	
             v_fmac_f32 v128, v180, v192 
             
	;;#ASMEND
	;;#ASMSTART
	
             v_fmac_f32 v129, v180, v193 
             
	;;#ASMEND
	;; [unrolled: 5-line block ×16, first 2 shown]
	s_waitcnt lgkmcnt(1)
	;;#ASMSTART
	
             v_fmac_f32 v116, v180, v196 
             
	;;#ASMEND
	;;#ASMSTART
	
             v_fmac_f32 v117, v180, v197 
             
	;;#ASMEND
	;; [unrolled: 5-line block ×16, first 2 shown]
	ds_load_b128 v[180:183], v165 offset:2048
	s_waitcnt lgkmcnt(1)
	;;#ASMSTART
	
             v_fmac_f32 v18, v208, v192 
             
	;;#ASMEND
	;;#ASMSTART
	
             v_fmac_f32 v19, v208, v193 
             
	;;#ASMEND
	;; [unrolled: 5-line block ×16, first 2 shown]
	ds_load_b128 v[192:195], v166 offset:18432
	;;#ASMSTART
	
             v_fmac_f32 v22, v208, v196 
             
	;;#ASMEND
	;;#ASMSTART
	
             v_fmac_f32 v23, v208, v197 
             
	;;#ASMEND
	;; [unrolled: 5-line block ×16, first 2 shown]
	ds_load_b128 v[196:199], v166 offset:18688
	ds_load_b128 v[208:211], v165 offset:2304
	s_waitcnt lgkmcnt(2)
	;;#ASMSTART
	
             v_fmac_f32 v128, v180, v192 
             
	;;#ASMEND
	;;#ASMSTART
	
             v_fmac_f32 v129, v180, v193 
             
	;;#ASMEND
	;; [unrolled: 5-line block ×16, first 2 shown]
	s_waitcnt lgkmcnt(1)
	;;#ASMSTART
	
             v_fmac_f32 v116, v180, v196 
             
	;;#ASMEND
	;;#ASMSTART
	
             v_fmac_f32 v117, v180, v197 
             
	;;#ASMEND
	;; [unrolled: 5-line block ×16, first 2 shown]
	ds_load_b128 v[180:183], v165 offset:2560
	s_waitcnt lgkmcnt(1)
	;;#ASMSTART
	
             v_fmac_f32 v18, v208, v192 
             
	;;#ASMEND
	;;#ASMSTART
	
             v_fmac_f32 v19, v208, v193 
             
	;;#ASMEND
	;; [unrolled: 5-line block ×16, first 2 shown]
	ds_load_b128 v[192:195], v166 offset:18944
	;;#ASMSTART
	
             v_fmac_f32 v22, v208, v196 
             
	;;#ASMEND
	;;#ASMSTART
	
             v_fmac_f32 v23, v208, v197 
             
	;;#ASMEND
	;; [unrolled: 5-line block ×16, first 2 shown]
	ds_load_b128 v[196:199], v166 offset:19200
	ds_load_b128 v[208:211], v165 offset:2816
	s_waitcnt lgkmcnt(2)
	;;#ASMSTART
	
             v_fmac_f32 v128, v180, v192 
             
	;;#ASMEND
	;;#ASMSTART
	
             v_fmac_f32 v129, v180, v193 
             
	;;#ASMEND
	;; [unrolled: 5-line block ×16, first 2 shown]
	s_waitcnt lgkmcnt(1)
	;;#ASMSTART
	
             v_fmac_f32 v116, v180, v196 
             
	;;#ASMEND
	;;#ASMSTART
	
             v_fmac_f32 v117, v180, v197 
             
	;;#ASMEND
	;; [unrolled: 5-line block ×16, first 2 shown]
	ds_load_b128 v[180:183], v165 offset:3072
	s_waitcnt lgkmcnt(1)
	;;#ASMSTART
	
             v_fmac_f32 v18, v208, v192 
             
	;;#ASMEND
	;;#ASMSTART
	
             v_fmac_f32 v19, v208, v193 
             
	;;#ASMEND
	;; [unrolled: 5-line block ×16, first 2 shown]
	ds_load_b128 v[192:195], v166 offset:19456
	;;#ASMSTART
	
             v_fmac_f32 v22, v208, v196 
             
	;;#ASMEND
	;;#ASMSTART
	
             v_fmac_f32 v23, v208, v197 
             
	;;#ASMEND
	;; [unrolled: 5-line block ×16, first 2 shown]
	ds_load_b128 v[196:199], v166 offset:19712
	ds_load_b128 v[208:211], v165 offset:3328
	s_waitcnt lgkmcnt(2)
	;;#ASMSTART
	
             v_fmac_f32 v128, v180, v192 
             
	;;#ASMEND
	;;#ASMSTART
	
             v_fmac_f32 v129, v180, v193 
             
	;;#ASMEND
	;; [unrolled: 5-line block ×16, first 2 shown]
	s_waitcnt lgkmcnt(1)
	;;#ASMSTART
	
             v_fmac_f32 v116, v180, v196 
             
	;;#ASMEND
	;;#ASMSTART
	
             v_fmac_f32 v117, v180, v197 
             
	;;#ASMEND
	;; [unrolled: 5-line block ×16, first 2 shown]
	ds_load_b128 v[180:183], v165 offset:3584
	s_waitcnt lgkmcnt(1)
	;;#ASMSTART
	
             v_fmac_f32 v18, v208, v192 
             
	;;#ASMEND
	;;#ASMSTART
	
             v_fmac_f32 v19, v208, v193 
             
	;;#ASMEND
	;;#ASMSTART
	
             v_fmac_f32 v20, v208, v194 
             
	;;#ASMEND
	;;#ASMSTART
	
             v_fmac_f32 v21, v208, v195 
             
	;;#ASMEND
	;;#ASMSTART
	
             v_fmac_f32 v30, v209, v192 
             
	;;#ASMEND
	;;#ASMSTART
	
             v_fmac_f32 v31, v209, v193 
             
	;;#ASMEND
	;;#ASMSTART
	
             v_fmac_f32 v32, v209, v194 
             
	;;#ASMEND
	;;#ASMSTART
	
             v_fmac_f32 v33, v209, v195 
             
	;;#ASMEND
	;;#ASMSTART
	
             v_fmac_f32 v34, v210, v192 
             
	;;#ASMEND
	;;#ASMSTART
	
             v_fmac_f32 v35, v210, v193 
             
	;;#ASMEND
	;;#ASMSTART
	
             v_fmac_f32 v36, v210, v194 
             
	;;#ASMEND
	;;#ASMSTART
	
             v_fmac_f32 v37, v210, v195 
             
	;;#ASMEND
	;;#ASMSTART
	
             v_fmac_f32 v64, v211, v192 
             
	;;#ASMEND
	;;#ASMSTART
	
             v_fmac_f32 v65, v211, v193 
             
	;;#ASMEND
	;;#ASMSTART
	
             v_fmac_f32 v66, v211, v194 
             
	;;#ASMEND
	;;#ASMSTART
	
             v_fmac_f32 v67, v211, v195 
             
	;;#ASMEND
	ds_load_b128 v[192:195], v166 offset:19968
	;;#ASMSTART
	
             v_fmac_f32 v22, v208, v196 
             
	;;#ASMEND
	;;#ASMSTART
	
             v_fmac_f32 v23, v208, v197 
             
	;;#ASMEND
	;; [unrolled: 5-line block ×16, first 2 shown]
	ds_load_b128 v[196:199], v166 offset:20224
	ds_load_b128 v[208:211], v165 offset:3840
	s_waitcnt lgkmcnt(2)
	;;#ASMSTART
	
             v_fmac_f32 v128, v180, v192 
             
	;;#ASMEND
	;;#ASMSTART
	
             v_fmac_f32 v129, v180, v193 
             
	;;#ASMEND
	;; [unrolled: 5-line block ×16, first 2 shown]
	s_waitcnt lgkmcnt(1)
	;;#ASMSTART
	
             v_fmac_f32 v116, v180, v196 
             
	;;#ASMEND
	;;#ASMSTART
	
             v_fmac_f32 v117, v180, v197 
             
	;;#ASMEND
	;;#ASMSTART
	
             v_fmac_f32 v118, v180, v198 
             
	;;#ASMEND
	;;#ASMSTART
	
             v_fmac_f32 v119, v180, v199 
             
	;;#ASMEND
	;;#ASMSTART
	
             v_fmac_f32 v112, v181, v196 
             
	;;#ASMEND
	;;#ASMSTART
	
             v_fmac_f32 v113, v181, v197 
             
	;;#ASMEND
	;;#ASMSTART
	
             v_fmac_f32 v114, v181, v198 
             
	;;#ASMEND
	;;#ASMSTART
	
             v_fmac_f32 v115, v181, v199 
             
	;;#ASMEND
	;;#ASMSTART
	
             v_fmac_f32 v84, v182, v196 
             
	;;#ASMEND
	;;#ASMSTART
	
             v_fmac_f32 v85, v182, v197 
             
	;;#ASMEND
	;;#ASMSTART
	
             v_fmac_f32 v86, v182, v198 
             
	;;#ASMEND
	;;#ASMSTART
	
             v_fmac_f32 v87, v182, v199 
             
	;;#ASMEND
	;;#ASMSTART
	
             v_fmac_f32 v80, v183, v196 
             
	;;#ASMEND
	;;#ASMSTART
	
             v_fmac_f32 v81, v183, v197 
             
	;;#ASMEND
	;;#ASMSTART
	
             v_fmac_f32 v82, v183, v198 
             
	;;#ASMEND
	;;#ASMSTART
	
             v_fmac_f32 v83, v183, v199 
             
	;;#ASMEND
	ds_load_b128 v[180:183], v165 offset:4096
	s_waitcnt lgkmcnt(1)
	;;#ASMSTART
	
             v_fmac_f32 v18, v208, v192 
             
	;;#ASMEND
	;;#ASMSTART
	
             v_fmac_f32 v19, v208, v193 
             
	;;#ASMEND
	;; [unrolled: 5-line block ×16, first 2 shown]
	ds_load_b128 v[192:195], v166 offset:20480
	;;#ASMSTART
	
             v_fmac_f32 v22, v208, v196 
             
	;;#ASMEND
	;;#ASMSTART
	
             v_fmac_f32 v23, v208, v197 
             
	;;#ASMEND
	;; [unrolled: 5-line block ×16, first 2 shown]
	ds_load_b128 v[196:199], v166 offset:20736
	ds_load_b128 v[208:211], v165 offset:4352
	s_waitcnt lgkmcnt(2)
	;;#ASMSTART
	
             v_fmac_f32 v128, v180, v192 
             
	;;#ASMEND
	;;#ASMSTART
	
             v_fmac_f32 v129, v180, v193 
             
	;;#ASMEND
	;; [unrolled: 5-line block ×16, first 2 shown]
	s_waitcnt lgkmcnt(1)
	;;#ASMSTART
	
             v_fmac_f32 v116, v180, v196 
             
	;;#ASMEND
	;;#ASMSTART
	
             v_fmac_f32 v117, v180, v197 
             
	;;#ASMEND
	;; [unrolled: 5-line block ×16, first 2 shown]
	ds_load_b128 v[180:183], v165 offset:4608
	s_waitcnt lgkmcnt(1)
	;;#ASMSTART
	
             v_fmac_f32 v18, v208, v192 
             
	;;#ASMEND
	;;#ASMSTART
	
             v_fmac_f32 v19, v208, v193 
             
	;;#ASMEND
	;; [unrolled: 5-line block ×16, first 2 shown]
	ds_load_b128 v[192:195], v166 offset:20992
	;;#ASMSTART
	
             v_fmac_f32 v22, v208, v196 
             
	;;#ASMEND
	;;#ASMSTART
	
             v_fmac_f32 v23, v208, v197 
             
	;;#ASMEND
	;; [unrolled: 5-line block ×16, first 2 shown]
	ds_load_b128 v[196:199], v166 offset:21248
	ds_load_b128 v[208:211], v165 offset:4864
	s_waitcnt lgkmcnt(2)
	;;#ASMSTART
	
             v_fmac_f32 v128, v180, v192 
             
	;;#ASMEND
	;;#ASMSTART
	
             v_fmac_f32 v129, v180, v193 
             
	;;#ASMEND
	;; [unrolled: 5-line block ×16, first 2 shown]
	s_waitcnt lgkmcnt(1)
	;;#ASMSTART
	
             v_fmac_f32 v116, v180, v196 
             
	;;#ASMEND
	;;#ASMSTART
	
             v_fmac_f32 v117, v180, v197 
             
	;;#ASMEND
	;; [unrolled: 5-line block ×16, first 2 shown]
	ds_load_b128 v[180:183], v165 offset:5120
	s_waitcnt lgkmcnt(1)
	;;#ASMSTART
	
             v_fmac_f32 v18, v208, v192 
             
	;;#ASMEND
	;;#ASMSTART
	
             v_fmac_f32 v19, v208, v193 
             
	;;#ASMEND
	;; [unrolled: 5-line block ×16, first 2 shown]
	ds_load_b128 v[192:195], v166 offset:21504
	;;#ASMSTART
	
             v_fmac_f32 v22, v208, v196 
             
	;;#ASMEND
	;;#ASMSTART
	
             v_fmac_f32 v23, v208, v197 
             
	;;#ASMEND
	;; [unrolled: 5-line block ×16, first 2 shown]
	ds_load_b128 v[196:199], v166 offset:21760
	ds_load_b128 v[208:211], v165 offset:5376
	s_waitcnt lgkmcnt(2)
	;;#ASMSTART
	
             v_fmac_f32 v128, v180, v192 
             
	;;#ASMEND
	;;#ASMSTART
	
             v_fmac_f32 v129, v180, v193 
             
	;;#ASMEND
	;; [unrolled: 5-line block ×16, first 2 shown]
	s_waitcnt lgkmcnt(1)
	;;#ASMSTART
	
             v_fmac_f32 v116, v180, v196 
             
	;;#ASMEND
	;;#ASMSTART
	
             v_fmac_f32 v117, v180, v197 
             
	;;#ASMEND
	;; [unrolled: 5-line block ×16, first 2 shown]
	ds_load_b128 v[180:183], v165 offset:5632
	s_waitcnt lgkmcnt(1)
	;;#ASMSTART
	
             v_fmac_f32 v18, v208, v192 
             
	;;#ASMEND
	;;#ASMSTART
	
             v_fmac_f32 v19, v208, v193 
             
	;;#ASMEND
	;; [unrolled: 5-line block ×16, first 2 shown]
	ds_load_b128 v[192:195], v166 offset:22016
	;;#ASMSTART
	
             v_fmac_f32 v22, v208, v196 
             
	;;#ASMEND
	;;#ASMSTART
	
             v_fmac_f32 v23, v208, v197 
             
	;;#ASMEND
	;; [unrolled: 5-line block ×16, first 2 shown]
	ds_load_b128 v[196:199], v166 offset:22272
	ds_load_b128 v[208:211], v165 offset:5888
	s_waitcnt lgkmcnt(2)
	;;#ASMSTART
	
             v_fmac_f32 v128, v180, v192 
             
	;;#ASMEND
	;;#ASMSTART
	
             v_fmac_f32 v129, v180, v193 
             
	;;#ASMEND
	;; [unrolled: 5-line block ×16, first 2 shown]
	s_waitcnt lgkmcnt(1)
	;;#ASMSTART
	
             v_fmac_f32 v116, v180, v196 
             
	;;#ASMEND
	;;#ASMSTART
	
             v_fmac_f32 v117, v180, v197 
             
	;;#ASMEND
	;;#ASMSTART
	
             v_fmac_f32 v118, v180, v198 
             
	;;#ASMEND
	;;#ASMSTART
	
             v_fmac_f32 v119, v180, v199 
             
	;;#ASMEND
	;;#ASMSTART
	
             v_fmac_f32 v112, v181, v196 
             
	;;#ASMEND
	;;#ASMSTART
	
             v_fmac_f32 v113, v181, v197 
             
	;;#ASMEND
	;;#ASMSTART
	
             v_fmac_f32 v114, v181, v198 
             
	;;#ASMEND
	;;#ASMSTART
	
             v_fmac_f32 v115, v181, v199 
             
	;;#ASMEND
	;;#ASMSTART
	
             v_fmac_f32 v84, v182, v196 
             
	;;#ASMEND
	;;#ASMSTART
	
             v_fmac_f32 v85, v182, v197 
             
	;;#ASMEND
	;;#ASMSTART
	
             v_fmac_f32 v86, v182, v198 
             
	;;#ASMEND
	;;#ASMSTART
	
             v_fmac_f32 v87, v182, v199 
             
	;;#ASMEND
	;;#ASMSTART
	
             v_fmac_f32 v80, v183, v196 
             
	;;#ASMEND
	;;#ASMSTART
	
             v_fmac_f32 v81, v183, v197 
             
	;;#ASMEND
	;;#ASMSTART
	
             v_fmac_f32 v82, v183, v198 
             
	;;#ASMEND
	;;#ASMSTART
	
             v_fmac_f32 v83, v183, v199 
             
	;;#ASMEND
	ds_load_b128 v[180:183], v165 offset:6144
	s_waitcnt lgkmcnt(1)
	;;#ASMSTART
	
             v_fmac_f32 v18, v208, v192 
             
	;;#ASMEND
	;;#ASMSTART
	
             v_fmac_f32 v19, v208, v193 
             
	;;#ASMEND
	;;#ASMSTART
	
             v_fmac_f32 v20, v208, v194 
             
	;;#ASMEND
	;;#ASMSTART
	
             v_fmac_f32 v21, v208, v195 
             
	;;#ASMEND
	;;#ASMSTART
	
             v_fmac_f32 v30, v209, v192 
             
	;;#ASMEND
	;;#ASMSTART
	
             v_fmac_f32 v31, v209, v193 
             
	;;#ASMEND
	;;#ASMSTART
	
             v_fmac_f32 v32, v209, v194 
             
	;;#ASMEND
	;;#ASMSTART
	
             v_fmac_f32 v33, v209, v195 
             
	;;#ASMEND
	;;#ASMSTART
	
             v_fmac_f32 v34, v210, v192 
             
	;;#ASMEND
	;;#ASMSTART
	
             v_fmac_f32 v35, v210, v193 
             
	;;#ASMEND
	;;#ASMSTART
	
             v_fmac_f32 v36, v210, v194 
             
	;;#ASMEND
	;;#ASMSTART
	
             v_fmac_f32 v37, v210, v195 
             
	;;#ASMEND
	;;#ASMSTART
	
             v_fmac_f32 v64, v211, v192 
             
	;;#ASMEND
	;;#ASMSTART
	
             v_fmac_f32 v65, v211, v193 
             
	;;#ASMEND
	;;#ASMSTART
	
             v_fmac_f32 v66, v211, v194 
             
	;;#ASMEND
	;;#ASMSTART
	
             v_fmac_f32 v67, v211, v195 
             
	;;#ASMEND
	ds_load_b128 v[192:195], v166 offset:22528
	;;#ASMSTART
	
             v_fmac_f32 v22, v208, v196 
             
	;;#ASMEND
	;;#ASMSTART
	
             v_fmac_f32 v23, v208, v197 
             
	;;#ASMEND
	;; [unrolled: 5-line block ×16, first 2 shown]
	ds_load_b128 v[196:199], v166 offset:22784
	ds_load_b128 v[208:211], v165 offset:6400
	s_waitcnt lgkmcnt(2)
	;;#ASMSTART
	
             v_fmac_f32 v128, v180, v192 
             
	;;#ASMEND
	;;#ASMSTART
	
             v_fmac_f32 v129, v180, v193 
             
	;;#ASMEND
	;; [unrolled: 5-line block ×16, first 2 shown]
	s_waitcnt lgkmcnt(1)
	;;#ASMSTART
	
             v_fmac_f32 v116, v180, v196 
             
	;;#ASMEND
	;;#ASMSTART
	
             v_fmac_f32 v117, v180, v197 
             
	;;#ASMEND
	;; [unrolled: 5-line block ×16, first 2 shown]
	ds_load_b128 v[180:183], v165 offset:6656
	s_waitcnt lgkmcnt(1)
	;;#ASMSTART
	
             v_fmac_f32 v18, v208, v192 
             
	;;#ASMEND
	;;#ASMSTART
	
             v_fmac_f32 v19, v208, v193 
             
	;;#ASMEND
	;; [unrolled: 5-line block ×16, first 2 shown]
	ds_load_b128 v[192:195], v166 offset:23040
	;;#ASMSTART
	
             v_fmac_f32 v22, v208, v196 
             
	;;#ASMEND
	;;#ASMSTART
	
             v_fmac_f32 v23, v208, v197 
             
	;;#ASMEND
	;; [unrolled: 5-line block ×16, first 2 shown]
	ds_load_b128 v[196:199], v166 offset:23296
	ds_load_b128 v[208:211], v165 offset:6912
	s_waitcnt lgkmcnt(2)
	;;#ASMSTART
	
             v_fmac_f32 v128, v180, v192 
             
	;;#ASMEND
	;;#ASMSTART
	
             v_fmac_f32 v129, v180, v193 
             
	;;#ASMEND
	;; [unrolled: 5-line block ×16, first 2 shown]
	s_waitcnt lgkmcnt(1)
	;;#ASMSTART
	
             v_fmac_f32 v116, v180, v196 
             
	;;#ASMEND
	;;#ASMSTART
	
             v_fmac_f32 v117, v180, v197 
             
	;;#ASMEND
	;; [unrolled: 5-line block ×16, first 2 shown]
	ds_load_b128 v[180:183], v165 offset:7168
	s_waitcnt lgkmcnt(1)
	;;#ASMSTART
	
             v_fmac_f32 v18, v208, v192 
             
	;;#ASMEND
	;;#ASMSTART
	
             v_fmac_f32 v19, v208, v193 
             
	;;#ASMEND
	;; [unrolled: 5-line block ×16, first 2 shown]
	ds_load_b128 v[192:195], v166 offset:23552
	;;#ASMSTART
	
             v_fmac_f32 v22, v208, v196 
             
	;;#ASMEND
	;;#ASMSTART
	
             v_fmac_f32 v23, v208, v197 
             
	;;#ASMEND
	;; [unrolled: 5-line block ×16, first 2 shown]
	ds_load_b128 v[196:199], v166 offset:23808
	ds_load_b128 v[208:211], v165 offset:7424
	s_waitcnt lgkmcnt(2)
	;;#ASMSTART
	
             v_fmac_f32 v128, v180, v192 
             
	;;#ASMEND
	;;#ASMSTART
	
             v_fmac_f32 v129, v180, v193 
             
	;;#ASMEND
	;; [unrolled: 5-line block ×16, first 2 shown]
	s_waitcnt lgkmcnt(1)
	;;#ASMSTART
	
             v_fmac_f32 v116, v180, v196 
             
	;;#ASMEND
	;;#ASMSTART
	
             v_fmac_f32 v117, v180, v197 
             
	;;#ASMEND
	;; [unrolled: 5-line block ×16, first 2 shown]
	ds_load_b128 v[180:183], v165 offset:7680
	s_waitcnt lgkmcnt(1)
	;;#ASMSTART
	
             v_fmac_f32 v18, v208, v192 
             
	;;#ASMEND
	;;#ASMSTART
	
             v_fmac_f32 v19, v208, v193 
             
	;;#ASMEND
	;; [unrolled: 5-line block ×16, first 2 shown]
	ds_load_b128 v[192:195], v166 offset:24064
	;;#ASMSTART
	
             v_fmac_f32 v22, v208, v196 
             
	;;#ASMEND
	;;#ASMSTART
	
             v_fmac_f32 v23, v208, v197 
             
	;;#ASMEND
	;; [unrolled: 5-line block ×16, first 2 shown]
	ds_load_b128 v[196:199], v166 offset:24320
	ds_load_b128 v[208:211], v165 offset:7936
	s_waitcnt lgkmcnt(2)
	;;#ASMSTART
	
             v_fmac_f32 v128, v180, v192 
             
	;;#ASMEND
	;;#ASMSTART
	
             v_fmac_f32 v129, v180, v193 
             
	;;#ASMEND
	;; [unrolled: 5-line block ×16, first 2 shown]
	s_waitcnt lgkmcnt(1)
	;;#ASMSTART
	
             v_fmac_f32 v116, v180, v196 
             
	;;#ASMEND
	;;#ASMSTART
	
             v_fmac_f32 v117, v180, v197 
             
	;;#ASMEND
	;; [unrolled: 5-line block ×16, first 2 shown]
	s_waitcnt lgkmcnt(0)
	;;#ASMSTART
	
             v_fmac_f32 v18, v208, v192 
             
	;;#ASMEND
	;;#ASMSTART
	
             v_fmac_f32 v19, v208, v193 
             
	;;#ASMEND
	;;#ASMSTART
	
             v_fmac_f32 v20, v208, v194 
             
	;;#ASMEND
	;;#ASMSTART
	
             v_fmac_f32 v21, v208, v195 
             
	;;#ASMEND
	;;#ASMSTART
	
             v_fmac_f32 v30, v209, v192 
             
	;;#ASMEND
	;;#ASMSTART
	
             v_fmac_f32 v31, v209, v193 
             
	;;#ASMEND
	;;#ASMSTART
	
             v_fmac_f32 v32, v209, v194 
             
	;;#ASMEND
	;;#ASMSTART
	
             v_fmac_f32 v33, v209, v195 
             
	;;#ASMEND
	;;#ASMSTART
	
             v_fmac_f32 v34, v210, v192 
             
	;;#ASMEND
	;;#ASMSTART
	
             v_fmac_f32 v35, v210, v193 
             
	;;#ASMEND
	;;#ASMSTART
	
             v_fmac_f32 v36, v210, v194 
             
	;;#ASMEND
	;;#ASMSTART
	
             v_fmac_f32 v37, v210, v195 
             
	;;#ASMEND
	;;#ASMSTART
	
             v_fmac_f32 v64, v211, v192 
             
	;;#ASMEND
	;;#ASMSTART
	
             v_fmac_f32 v65, v211, v193 
             
	;;#ASMEND
	;;#ASMSTART
	
             v_fmac_f32 v66, v211, v194 
             
	;;#ASMEND
	;;#ASMSTART
	
             v_fmac_f32 v67, v211, v195 
             
	;;#ASMEND
	;;#ASMSTART
	
             v_fmac_f32 v22, v208, v196 
             
	;;#ASMEND
	;;#ASMSTART
	
             v_fmac_f32 v23, v208, v197 
             
	;;#ASMEND
	;;#ASMSTART
	
             v_fmac_f32 v24, v208, v198 
             
	;;#ASMEND
	;;#ASMSTART
	
             v_fmac_f32 v25, v208, v199 
             
	;;#ASMEND
	;;#ASMSTART
	
             v_fmac_f32 v26, v209, v196 
             
	;;#ASMEND
	;;#ASMSTART
	
             v_fmac_f32 v27, v209, v197 
             
	;;#ASMEND
	;;#ASMSTART
	
             v_fmac_f32 v28, v209, v198 
             
	;;#ASMEND
	;;#ASMSTART
	
             v_fmac_f32 v29, v209, v199 
             
	;;#ASMEND
	;;#ASMSTART
	
             v_fmac_f32 v48, v210, v196 
             
	;;#ASMEND
	;;#ASMSTART
	
             v_fmac_f32 v49, v210, v197 
             
	;;#ASMEND
	;;#ASMSTART
	
             v_fmac_f32 v50, v210, v198 
             
	;;#ASMEND
	;;#ASMSTART
	
             v_fmac_f32 v51, v210, v199 
             
	;;#ASMEND
	;;#ASMSTART
	
             v_fmac_f32 v52, v211, v196 
             
	;;#ASMEND
	;;#ASMSTART
	
             v_fmac_f32 v53, v211, v197 
             
	;;#ASMEND
	;;#ASMSTART
	
             v_fmac_f32 v54, v211, v198 
             
	;;#ASMEND
	;;#ASMSTART
	
             v_fmac_f32 v55, v211, v199 
             
	;;#ASMEND
	ds_store_b128 v167, v[132:135] offset:8192
	ds_store_b128 v167, v[148:151] offset:24576
	;; [unrolled: 1-line block ×4, first 2 shown]
	flat_load_b32 v146, v[6:7] offset:12
	flat_load_b32 v162, v[8:9] offset:8
	s_waitcnt vmcnt(1) lgkmcnt(1)
	v_mad_u64_u32 v[144:145], null, v146, 15, v[13:14]
	s_waitcnt vmcnt(0) lgkmcnt(0)
	v_mad_u64_u32 v[160:161], null, v162, 15, v[38:39]
	s_delay_alu instid0(VALU_DEP_2)
	v_lshlrev_b32_e32 v13, 2, v144
.LBB1_18:                               ;   Parent Loop BB1_9 Depth=1
                                        ; =>  This Inner Loop Header: Depth=2
	v_readfirstlane_b32 s4, v0
	v_readfirstlane_b32 s5, v1
	;; [unrolled: 1-line block ×4, first 2 shown]
	s_delay_alu instid0(VALU_DEP_3) | instskip(NEXT) | instid1(VALU_DEP_2)
	v_cmp_eq_u64_e32 vcc_lo, s[4:5], v[0:1]
	v_cmp_eq_u64_e64 s0, s[6:7], v[2:3]
	s_delay_alu instid0(VALU_DEP_1) | instskip(NEXT) | instid1(SALU_CYCLE_1)
	s_and_b32 s0, vcc_lo, s0
	s_and_saveexec_b32 s0, s0
	buffer_load_b128 v[132:135], v13, s[4:7], 0 offen
                                        ; implicit-def: $vgpr13
	s_xor_b32 exec_lo, exec_lo, s0
	s_cbranch_execnz .LBB1_18
; %bb.19:                               ;   in Loop: Header=BB1_9 Depth=1
	s_mov_b32 exec_lo, s9
	v_add_nc_u32_e32 v13, v146, v144
	s_mov_b32 s9, exec_lo
	s_delay_alu instid0(VALU_DEP_1)
	v_lshlrev_b32_e32 v38, 2, v13
.LBB1_20:                               ;   Parent Loop BB1_9 Depth=1
                                        ; =>  This Inner Loop Header: Depth=2
	v_readfirstlane_b32 s4, v0
	v_readfirstlane_b32 s5, v1
	;; [unrolled: 1-line block ×4, first 2 shown]
	s_delay_alu instid0(VALU_DEP_3) | instskip(NEXT) | instid1(VALU_DEP_2)
	v_cmp_eq_u64_e32 vcc_lo, s[4:5], v[0:1]
	v_cmp_eq_u64_e64 s0, s[6:7], v[2:3]
	s_delay_alu instid0(VALU_DEP_1) | instskip(NEXT) | instid1(SALU_CYCLE_1)
	s_and_b32 s0, vcc_lo, s0
	s_and_saveexec_b32 s0, s0
	buffer_load_b128 v[144:147], v38, s[4:7], 0 offen
                                        ; implicit-def: $vgpr38
	s_xor_b32 exec_lo, exec_lo, s0
	s_cbranch_execnz .LBB1_20
; %bb.21:                               ;   in Loop: Header=BB1_9 Depth=1
	s_mov_b32 exec_lo, s9
	v_lshlrev_b32_e32 v38, 2, v160
	s_mov_b32 s9, exec_lo
.LBB1_22:                               ;   Parent Loop BB1_9 Depth=1
                                        ; =>  This Inner Loop Header: Depth=2
	v_readfirstlane_b32 s4, v14
	v_readfirstlane_b32 s5, v15
	;; [unrolled: 1-line block ×4, first 2 shown]
	s_delay_alu instid0(VALU_DEP_3) | instskip(NEXT) | instid1(VALU_DEP_2)
	v_cmp_eq_u64_e32 vcc_lo, s[4:5], v[14:15]
	v_cmp_eq_u64_e64 s0, s[6:7], v[16:17]
	s_delay_alu instid0(VALU_DEP_1) | instskip(NEXT) | instid1(SALU_CYCLE_1)
	s_and_b32 s0, vcc_lo, s0
	s_and_saveexec_b32 s0, s0
	buffer_load_b128 v[148:151], v38, s[4:7], 0 offen
                                        ; implicit-def: $vgpr38
	s_xor_b32 exec_lo, exec_lo, s0
	s_cbranch_execnz .LBB1_22
; %bb.23:                               ;   in Loop: Header=BB1_9 Depth=1
	s_mov_b32 exec_lo, s9
	v_add_nc_u32_e32 v38, v162, v160
	s_mov_b32 s9, exec_lo
	s_delay_alu instid0(VALU_DEP_1)
	v_lshlrev_b32_e32 v180, 2, v38
.LBB1_24:                               ;   Parent Loop BB1_9 Depth=1
                                        ; =>  This Inner Loop Header: Depth=2
	v_readfirstlane_b32 s4, v14
	v_readfirstlane_b32 s5, v15
	;; [unrolled: 1-line block ×4, first 2 shown]
	s_delay_alu instid0(VALU_DEP_3) | instskip(NEXT) | instid1(VALU_DEP_2)
	v_cmp_eq_u64_e32 vcc_lo, s[4:5], v[14:15]
	v_cmp_eq_u64_e64 s0, s[6:7], v[16:17]
	s_delay_alu instid0(VALU_DEP_1) | instskip(NEXT) | instid1(SALU_CYCLE_1)
	s_and_b32 s0, vcc_lo, s0
	s_and_saveexec_b32 s0, s0
	buffer_load_b128 v[160:163], v180, s[4:7], 0 offen
                                        ; implicit-def: $vgpr180
	s_xor_b32 exec_lo, exec_lo, s0
	s_cbranch_execnz .LBB1_24
; %bb.25:                               ;   in Loop: Header=BB1_9 Depth=1
	s_mov_b32 exec_lo, s9
	s_waitcnt vmcnt(0) lgkmcnt(0)
	s_barrier
	ds_load_b128 v[180:183], v165 offset:8192
	ds_load_b128 v[192:195], v166 offset:24576
	;; [unrolled: 1-line block ×4, first 2 shown]
	s_add_i32 s8, s8, 32
	s_waitcnt lgkmcnt(2)
	;;#ASMSTART
	
             v_fmac_f32 v128, v180, v192 
             
	;;#ASMEND
	;;#ASMSTART
	
             v_fmac_f32 v129, v180, v193 
             
	;;#ASMEND
	;; [unrolled: 5-line block ×16, first 2 shown]
	s_waitcnt lgkmcnt(1)
	;;#ASMSTART
	
             v_fmac_f32 v116, v180, v196 
             
	;;#ASMEND
	;;#ASMSTART
	
             v_fmac_f32 v117, v180, v197 
             
	;;#ASMEND
	;; [unrolled: 5-line block ×16, first 2 shown]
	ds_load_b128 v[180:183], v165 offset:8704
	s_waitcnt lgkmcnt(1)
	;;#ASMSTART
	
             v_fmac_f32 v18, v208, v192 
             
	;;#ASMEND
	;;#ASMSTART
	
             v_fmac_f32 v19, v208, v193 
             
	;;#ASMEND
	;; [unrolled: 5-line block ×16, first 2 shown]
	ds_load_b128 v[192:195], v166 offset:25088
	;;#ASMSTART
	
             v_fmac_f32 v22, v208, v196 
             
	;;#ASMEND
	;;#ASMSTART
	
             v_fmac_f32 v23, v208, v197 
             
	;;#ASMEND
	;; [unrolled: 5-line block ×16, first 2 shown]
	ds_load_b128 v[196:199], v166 offset:25344
	ds_load_b128 v[208:211], v165 offset:8960
	s_waitcnt lgkmcnt(2)
	;;#ASMSTART
	
             v_fmac_f32 v128, v180, v192 
             
	;;#ASMEND
	;;#ASMSTART
	
             v_fmac_f32 v129, v180, v193 
             
	;;#ASMEND
	;; [unrolled: 5-line block ×16, first 2 shown]
	s_waitcnt lgkmcnt(1)
	;;#ASMSTART
	
             v_fmac_f32 v116, v180, v196 
             
	;;#ASMEND
	;;#ASMSTART
	
             v_fmac_f32 v117, v180, v197 
             
	;;#ASMEND
	;; [unrolled: 5-line block ×16, first 2 shown]
	ds_load_b128 v[180:183], v165 offset:9216
	s_waitcnt lgkmcnt(1)
	;;#ASMSTART
	
             v_fmac_f32 v18, v208, v192 
             
	;;#ASMEND
	;;#ASMSTART
	
             v_fmac_f32 v19, v208, v193 
             
	;;#ASMEND
	;; [unrolled: 5-line block ×16, first 2 shown]
	ds_load_b128 v[192:195], v166 offset:25600
	;;#ASMSTART
	
             v_fmac_f32 v22, v208, v196 
             
	;;#ASMEND
	;;#ASMSTART
	
             v_fmac_f32 v23, v208, v197 
             
	;;#ASMEND
	;;#ASMSTART
	
             v_fmac_f32 v24, v208, v198 
             
	;;#ASMEND
	;;#ASMSTART
	
             v_fmac_f32 v25, v208, v199 
             
	;;#ASMEND
	;;#ASMSTART
	
             v_fmac_f32 v26, v209, v196 
             
	;;#ASMEND
	;;#ASMSTART
	
             v_fmac_f32 v27, v209, v197 
             
	;;#ASMEND
	;;#ASMSTART
	
             v_fmac_f32 v28, v209, v198 
             
	;;#ASMEND
	;;#ASMSTART
	
             v_fmac_f32 v29, v209, v199 
             
	;;#ASMEND
	;;#ASMSTART
	
             v_fmac_f32 v48, v210, v196 
             
	;;#ASMEND
	;;#ASMSTART
	
             v_fmac_f32 v49, v210, v197 
             
	;;#ASMEND
	;;#ASMSTART
	
             v_fmac_f32 v50, v210, v198 
             
	;;#ASMEND
	;;#ASMSTART
	
             v_fmac_f32 v51, v210, v199 
             
	;;#ASMEND
	;;#ASMSTART
	
             v_fmac_f32 v52, v211, v196 
             
	;;#ASMEND
	;;#ASMSTART
	
             v_fmac_f32 v53, v211, v197 
             
	;;#ASMEND
	;;#ASMSTART
	
             v_fmac_f32 v54, v211, v198 
             
	;;#ASMEND
	;;#ASMSTART
	
             v_fmac_f32 v55, v211, v199 
             
	;;#ASMEND
	ds_load_b128 v[196:199], v166 offset:25856
	ds_load_b128 v[208:211], v165 offset:9472
	s_waitcnt lgkmcnt(2)
	;;#ASMSTART
	
             v_fmac_f32 v128, v180, v192 
             
	;;#ASMEND
	;;#ASMSTART
	
             v_fmac_f32 v129, v180, v193 
             
	;;#ASMEND
	;; [unrolled: 5-line block ×16, first 2 shown]
	s_waitcnt lgkmcnt(1)
	;;#ASMSTART
	
             v_fmac_f32 v116, v180, v196 
             
	;;#ASMEND
	;;#ASMSTART
	
             v_fmac_f32 v117, v180, v197 
             
	;;#ASMEND
	;; [unrolled: 5-line block ×16, first 2 shown]
	ds_load_b128 v[180:183], v165 offset:9728
	s_waitcnt lgkmcnt(1)
	;;#ASMSTART
	
             v_fmac_f32 v18, v208, v192 
             
	;;#ASMEND
	;;#ASMSTART
	
             v_fmac_f32 v19, v208, v193 
             
	;;#ASMEND
	;; [unrolled: 5-line block ×16, first 2 shown]
	ds_load_b128 v[192:195], v166 offset:26112
	;;#ASMSTART
	
             v_fmac_f32 v22, v208, v196 
             
	;;#ASMEND
	;;#ASMSTART
	
             v_fmac_f32 v23, v208, v197 
             
	;;#ASMEND
	;; [unrolled: 5-line block ×16, first 2 shown]
	ds_load_b128 v[196:199], v166 offset:26368
	ds_load_b128 v[208:211], v165 offset:9984
	s_waitcnt lgkmcnt(2)
	;;#ASMSTART
	
             v_fmac_f32 v128, v180, v192 
             
	;;#ASMEND
	;;#ASMSTART
	
             v_fmac_f32 v129, v180, v193 
             
	;;#ASMEND
	;; [unrolled: 5-line block ×16, first 2 shown]
	s_waitcnt lgkmcnt(1)
	;;#ASMSTART
	
             v_fmac_f32 v116, v180, v196 
             
	;;#ASMEND
	;;#ASMSTART
	
             v_fmac_f32 v117, v180, v197 
             
	;;#ASMEND
	;; [unrolled: 5-line block ×16, first 2 shown]
	ds_load_b128 v[180:183], v165 offset:10240
	s_waitcnt lgkmcnt(1)
	;;#ASMSTART
	
             v_fmac_f32 v18, v208, v192 
             
	;;#ASMEND
	;;#ASMSTART
	
             v_fmac_f32 v19, v208, v193 
             
	;;#ASMEND
	;;#ASMSTART
	
             v_fmac_f32 v20, v208, v194 
             
	;;#ASMEND
	;;#ASMSTART
	
             v_fmac_f32 v21, v208, v195 
             
	;;#ASMEND
	;;#ASMSTART
	
             v_fmac_f32 v30, v209, v192 
             
	;;#ASMEND
	;;#ASMSTART
	
             v_fmac_f32 v31, v209, v193 
             
	;;#ASMEND
	;;#ASMSTART
	
             v_fmac_f32 v32, v209, v194 
             
	;;#ASMEND
	;;#ASMSTART
	
             v_fmac_f32 v33, v209, v195 
             
	;;#ASMEND
	;;#ASMSTART
	
             v_fmac_f32 v34, v210, v192 
             
	;;#ASMEND
	;;#ASMSTART
	
             v_fmac_f32 v35, v210, v193 
             
	;;#ASMEND
	;;#ASMSTART
	
             v_fmac_f32 v36, v210, v194 
             
	;;#ASMEND
	;;#ASMSTART
	
             v_fmac_f32 v37, v210, v195 
             
	;;#ASMEND
	;;#ASMSTART
	
             v_fmac_f32 v64, v211, v192 
             
	;;#ASMEND
	;;#ASMSTART
	
             v_fmac_f32 v65, v211, v193 
             
	;;#ASMEND
	;;#ASMSTART
	
             v_fmac_f32 v66, v211, v194 
             
	;;#ASMEND
	;;#ASMSTART
	
             v_fmac_f32 v67, v211, v195 
             
	;;#ASMEND
	ds_load_b128 v[192:195], v166 offset:26624
	;;#ASMSTART
	
             v_fmac_f32 v22, v208, v196 
             
	;;#ASMEND
	;;#ASMSTART
	
             v_fmac_f32 v23, v208, v197 
             
	;;#ASMEND
	;; [unrolled: 5-line block ×16, first 2 shown]
	ds_load_b128 v[196:199], v166 offset:26880
	ds_load_b128 v[208:211], v165 offset:10496
	s_waitcnt lgkmcnt(2)
	;;#ASMSTART
	
             v_fmac_f32 v128, v180, v192 
             
	;;#ASMEND
	;;#ASMSTART
	
             v_fmac_f32 v129, v180, v193 
             
	;;#ASMEND
	;; [unrolled: 5-line block ×16, first 2 shown]
	s_waitcnt lgkmcnt(1)
	;;#ASMSTART
	
             v_fmac_f32 v116, v180, v196 
             
	;;#ASMEND
	;;#ASMSTART
	
             v_fmac_f32 v117, v180, v197 
             
	;;#ASMEND
	;; [unrolled: 5-line block ×16, first 2 shown]
	ds_load_b128 v[180:183], v165 offset:10752
	s_waitcnt lgkmcnt(1)
	;;#ASMSTART
	
             v_fmac_f32 v18, v208, v192 
             
	;;#ASMEND
	;;#ASMSTART
	
             v_fmac_f32 v19, v208, v193 
             
	;;#ASMEND
	;; [unrolled: 5-line block ×16, first 2 shown]
	ds_load_b128 v[192:195], v166 offset:27136
	;;#ASMSTART
	
             v_fmac_f32 v22, v208, v196 
             
	;;#ASMEND
	;;#ASMSTART
	
             v_fmac_f32 v23, v208, v197 
             
	;;#ASMEND
	;;#ASMSTART
	
             v_fmac_f32 v24, v208, v198 
             
	;;#ASMEND
	;;#ASMSTART
	
             v_fmac_f32 v25, v208, v199 
             
	;;#ASMEND
	;;#ASMSTART
	
             v_fmac_f32 v26, v209, v196 
             
	;;#ASMEND
	;;#ASMSTART
	
             v_fmac_f32 v27, v209, v197 
             
	;;#ASMEND
	;;#ASMSTART
	
             v_fmac_f32 v28, v209, v198 
             
	;;#ASMEND
	;;#ASMSTART
	
             v_fmac_f32 v29, v209, v199 
             
	;;#ASMEND
	;;#ASMSTART
	
             v_fmac_f32 v48, v210, v196 
             
	;;#ASMEND
	;;#ASMSTART
	
             v_fmac_f32 v49, v210, v197 
             
	;;#ASMEND
	;;#ASMSTART
	
             v_fmac_f32 v50, v210, v198 
             
	;;#ASMEND
	;;#ASMSTART
	
             v_fmac_f32 v51, v210, v199 
             
	;;#ASMEND
	;;#ASMSTART
	
             v_fmac_f32 v52, v211, v196 
             
	;;#ASMEND
	;;#ASMSTART
	
             v_fmac_f32 v53, v211, v197 
             
	;;#ASMEND
	;;#ASMSTART
	
             v_fmac_f32 v54, v211, v198 
             
	;;#ASMEND
	;;#ASMSTART
	
             v_fmac_f32 v55, v211, v199 
             
	;;#ASMEND
	ds_load_b128 v[196:199], v166 offset:27392
	ds_load_b128 v[208:211], v165 offset:11008
	s_waitcnt lgkmcnt(2)
	;;#ASMSTART
	
             v_fmac_f32 v128, v180, v192 
             
	;;#ASMEND
	;;#ASMSTART
	
             v_fmac_f32 v129, v180, v193 
             
	;;#ASMEND
	;; [unrolled: 5-line block ×16, first 2 shown]
	s_waitcnt lgkmcnt(1)
	;;#ASMSTART
	
             v_fmac_f32 v116, v180, v196 
             
	;;#ASMEND
	;;#ASMSTART
	
             v_fmac_f32 v117, v180, v197 
             
	;;#ASMEND
	;; [unrolled: 5-line block ×16, first 2 shown]
	ds_load_b128 v[180:183], v165 offset:11264
	s_waitcnt lgkmcnt(1)
	;;#ASMSTART
	
             v_fmac_f32 v18, v208, v192 
             
	;;#ASMEND
	;;#ASMSTART
	
             v_fmac_f32 v19, v208, v193 
             
	;;#ASMEND
	;; [unrolled: 5-line block ×16, first 2 shown]
	ds_load_b128 v[192:195], v166 offset:27648
	;;#ASMSTART
	
             v_fmac_f32 v22, v208, v196 
             
	;;#ASMEND
	;;#ASMSTART
	
             v_fmac_f32 v23, v208, v197 
             
	;;#ASMEND
	;; [unrolled: 5-line block ×16, first 2 shown]
	ds_load_b128 v[196:199], v166 offset:27904
	ds_load_b128 v[208:211], v165 offset:11520
	s_waitcnt lgkmcnt(2)
	;;#ASMSTART
	
             v_fmac_f32 v128, v180, v192 
             
	;;#ASMEND
	;;#ASMSTART
	
             v_fmac_f32 v129, v180, v193 
             
	;;#ASMEND
	;; [unrolled: 5-line block ×16, first 2 shown]
	s_waitcnt lgkmcnt(1)
	;;#ASMSTART
	
             v_fmac_f32 v116, v180, v196 
             
	;;#ASMEND
	;;#ASMSTART
	
             v_fmac_f32 v117, v180, v197 
             
	;;#ASMEND
	;; [unrolled: 5-line block ×16, first 2 shown]
	ds_load_b128 v[180:183], v165 offset:11776
	s_waitcnt lgkmcnt(1)
	;;#ASMSTART
	
             v_fmac_f32 v18, v208, v192 
             
	;;#ASMEND
	;;#ASMSTART
	
             v_fmac_f32 v19, v208, v193 
             
	;;#ASMEND
	;; [unrolled: 5-line block ×16, first 2 shown]
	ds_load_b128 v[192:195], v166 offset:28160
	;;#ASMSTART
	
             v_fmac_f32 v22, v208, v196 
             
	;;#ASMEND
	;;#ASMSTART
	
             v_fmac_f32 v23, v208, v197 
             
	;;#ASMEND
	;; [unrolled: 5-line block ×16, first 2 shown]
	ds_load_b128 v[196:199], v166 offset:28416
	ds_load_b128 v[208:211], v165 offset:12032
	s_waitcnt lgkmcnt(2)
	;;#ASMSTART
	
             v_fmac_f32 v128, v180, v192 
             
	;;#ASMEND
	;;#ASMSTART
	
             v_fmac_f32 v129, v180, v193 
             
	;;#ASMEND
	;; [unrolled: 5-line block ×16, first 2 shown]
	s_waitcnt lgkmcnt(1)
	;;#ASMSTART
	
             v_fmac_f32 v116, v180, v196 
             
	;;#ASMEND
	;;#ASMSTART
	
             v_fmac_f32 v117, v180, v197 
             
	;;#ASMEND
	;; [unrolled: 5-line block ×16, first 2 shown]
	ds_load_b128 v[180:183], v165 offset:12288
	s_waitcnt lgkmcnt(1)
	;;#ASMSTART
	
             v_fmac_f32 v18, v208, v192 
             
	;;#ASMEND
	;;#ASMSTART
	
             v_fmac_f32 v19, v208, v193 
             
	;;#ASMEND
	;; [unrolled: 5-line block ×16, first 2 shown]
	ds_load_b128 v[192:195], v166 offset:28672
	;;#ASMSTART
	
             v_fmac_f32 v22, v208, v196 
             
	;;#ASMEND
	;;#ASMSTART
	
             v_fmac_f32 v23, v208, v197 
             
	;;#ASMEND
	;; [unrolled: 5-line block ×16, first 2 shown]
	ds_load_b128 v[196:199], v166 offset:28928
	ds_load_b128 v[208:211], v165 offset:12544
	s_waitcnt lgkmcnt(2)
	;;#ASMSTART
	
             v_fmac_f32 v128, v180, v192 
             
	;;#ASMEND
	;;#ASMSTART
	
             v_fmac_f32 v129, v180, v193 
             
	;;#ASMEND
	;; [unrolled: 5-line block ×16, first 2 shown]
	s_waitcnt lgkmcnt(1)
	;;#ASMSTART
	
             v_fmac_f32 v116, v180, v196 
             
	;;#ASMEND
	;;#ASMSTART
	
             v_fmac_f32 v117, v180, v197 
             
	;;#ASMEND
	;; [unrolled: 5-line block ×16, first 2 shown]
	ds_load_b128 v[180:183], v165 offset:12800
	s_waitcnt lgkmcnt(1)
	;;#ASMSTART
	
             v_fmac_f32 v18, v208, v192 
             
	;;#ASMEND
	;;#ASMSTART
	
             v_fmac_f32 v19, v208, v193 
             
	;;#ASMEND
	;; [unrolled: 5-line block ×16, first 2 shown]
	ds_load_b128 v[192:195], v166 offset:29184
	;;#ASMSTART
	
             v_fmac_f32 v22, v208, v196 
             
	;;#ASMEND
	;;#ASMSTART
	
             v_fmac_f32 v23, v208, v197 
             
	;;#ASMEND
	;; [unrolled: 5-line block ×16, first 2 shown]
	ds_load_b128 v[196:199], v166 offset:29440
	ds_load_b128 v[208:211], v165 offset:13056
	s_waitcnt lgkmcnt(2)
	;;#ASMSTART
	
             v_fmac_f32 v128, v180, v192 
             
	;;#ASMEND
	;;#ASMSTART
	
             v_fmac_f32 v129, v180, v193 
             
	;;#ASMEND
	;;#ASMSTART
	
             v_fmac_f32 v130, v180, v194 
             
	;;#ASMEND
	;;#ASMSTART
	
             v_fmac_f32 v131, v180, v195 
             
	;;#ASMEND
	;;#ASMSTART
	
             v_fmac_f32 v100, v181, v192 
             
	;;#ASMEND
	;;#ASMSTART
	
             v_fmac_f32 v101, v181, v193 
             
	;;#ASMEND
	;;#ASMSTART
	
             v_fmac_f32 v102, v181, v194 
             
	;;#ASMEND
	;;#ASMSTART
	
             v_fmac_f32 v103, v181, v195 
             
	;;#ASMEND
	;;#ASMSTART
	
             v_fmac_f32 v96, v182, v192 
             
	;;#ASMEND
	;;#ASMSTART
	
             v_fmac_f32 v97, v182, v193 
             
	;;#ASMEND
	;;#ASMSTART
	
             v_fmac_f32 v98, v182, v194 
             
	;;#ASMEND
	;;#ASMSTART
	
             v_fmac_f32 v99, v182, v195 
             
	;;#ASMEND
	;;#ASMSTART
	
             v_fmac_f32 v68, v183, v192 
             
	;;#ASMEND
	;;#ASMSTART
	
             v_fmac_f32 v69, v183, v193 
             
	;;#ASMEND
	;;#ASMSTART
	
             v_fmac_f32 v70, v183, v194 
             
	;;#ASMEND
	;;#ASMSTART
	
             v_fmac_f32 v71, v183, v195 
             
	;;#ASMEND
	s_waitcnt lgkmcnt(1)
	;;#ASMSTART
	
             v_fmac_f32 v116, v180, v196 
             
	;;#ASMEND
	;;#ASMSTART
	
             v_fmac_f32 v117, v180, v197 
             
	;;#ASMEND
	;;#ASMSTART
	
             v_fmac_f32 v118, v180, v198 
             
	;;#ASMEND
	;;#ASMSTART
	
             v_fmac_f32 v119, v180, v199 
             
	;;#ASMEND
	;;#ASMSTART
	
             v_fmac_f32 v112, v181, v196 
             
	;;#ASMEND
	;;#ASMSTART
	
             v_fmac_f32 v113, v181, v197 
             
	;;#ASMEND
	;;#ASMSTART
	
             v_fmac_f32 v114, v181, v198 
             
	;;#ASMEND
	;;#ASMSTART
	
             v_fmac_f32 v115, v181, v199 
             
	;;#ASMEND
	;;#ASMSTART
	
             v_fmac_f32 v84, v182, v196 
             
	;;#ASMEND
	;;#ASMSTART
	
             v_fmac_f32 v85, v182, v197 
             
	;;#ASMEND
	;;#ASMSTART
	
             v_fmac_f32 v86, v182, v198 
             
	;;#ASMEND
	;;#ASMSTART
	
             v_fmac_f32 v87, v182, v199 
             
	;;#ASMEND
	;;#ASMSTART
	
             v_fmac_f32 v80, v183, v196 
             
	;;#ASMEND
	;;#ASMSTART
	
             v_fmac_f32 v81, v183, v197 
             
	;;#ASMEND
	;;#ASMSTART
	
             v_fmac_f32 v82, v183, v198 
             
	;;#ASMEND
	;;#ASMSTART
	
             v_fmac_f32 v83, v183, v199 
             
	;;#ASMEND
	ds_load_b128 v[180:183], v165 offset:13312
	s_waitcnt lgkmcnt(1)
	;;#ASMSTART
	
             v_fmac_f32 v18, v208, v192 
             
	;;#ASMEND
	;;#ASMSTART
	
             v_fmac_f32 v19, v208, v193 
             
	;;#ASMEND
	;; [unrolled: 5-line block ×16, first 2 shown]
	ds_load_b128 v[192:195], v166 offset:29696
	;;#ASMSTART
	
             v_fmac_f32 v22, v208, v196 
             
	;;#ASMEND
	;;#ASMSTART
	
             v_fmac_f32 v23, v208, v197 
             
	;;#ASMEND
	;; [unrolled: 5-line block ×16, first 2 shown]
	ds_load_b128 v[196:199], v166 offset:29952
	ds_load_b128 v[208:211], v165 offset:13568
	s_waitcnt lgkmcnt(2)
	;;#ASMSTART
	
             v_fmac_f32 v128, v180, v192 
             
	;;#ASMEND
	;;#ASMSTART
	
             v_fmac_f32 v129, v180, v193 
             
	;;#ASMEND
	;; [unrolled: 5-line block ×16, first 2 shown]
	s_waitcnt lgkmcnt(1)
	;;#ASMSTART
	
             v_fmac_f32 v116, v180, v196 
             
	;;#ASMEND
	;;#ASMSTART
	
             v_fmac_f32 v117, v180, v197 
             
	;;#ASMEND
	;; [unrolled: 5-line block ×16, first 2 shown]
	ds_load_b128 v[180:183], v165 offset:13824
	s_waitcnt lgkmcnt(1)
	;;#ASMSTART
	
             v_fmac_f32 v18, v208, v192 
             
	;;#ASMEND
	;;#ASMSTART
	
             v_fmac_f32 v19, v208, v193 
             
	;;#ASMEND
	;; [unrolled: 5-line block ×16, first 2 shown]
	ds_load_b128 v[192:195], v166 offset:30208
	;;#ASMSTART
	
             v_fmac_f32 v22, v208, v196 
             
	;;#ASMEND
	;;#ASMSTART
	
             v_fmac_f32 v23, v208, v197 
             
	;;#ASMEND
	;;#ASMSTART
	
             v_fmac_f32 v24, v208, v198 
             
	;;#ASMEND
	;;#ASMSTART
	
             v_fmac_f32 v25, v208, v199 
             
	;;#ASMEND
	;;#ASMSTART
	
             v_fmac_f32 v26, v209, v196 
             
	;;#ASMEND
	;;#ASMSTART
	
             v_fmac_f32 v27, v209, v197 
             
	;;#ASMEND
	;;#ASMSTART
	
             v_fmac_f32 v28, v209, v198 
             
	;;#ASMEND
	;;#ASMSTART
	
             v_fmac_f32 v29, v209, v199 
             
	;;#ASMEND
	;;#ASMSTART
	
             v_fmac_f32 v48, v210, v196 
             
	;;#ASMEND
	;;#ASMSTART
	
             v_fmac_f32 v49, v210, v197 
             
	;;#ASMEND
	;;#ASMSTART
	
             v_fmac_f32 v50, v210, v198 
             
	;;#ASMEND
	;;#ASMSTART
	
             v_fmac_f32 v51, v210, v199 
             
	;;#ASMEND
	;;#ASMSTART
	
             v_fmac_f32 v52, v211, v196 
             
	;;#ASMEND
	;;#ASMSTART
	
             v_fmac_f32 v53, v211, v197 
             
	;;#ASMEND
	;;#ASMSTART
	
             v_fmac_f32 v54, v211, v198 
             
	;;#ASMEND
	;;#ASMSTART
	
             v_fmac_f32 v55, v211, v199 
             
	;;#ASMEND
	ds_load_b128 v[196:199], v166 offset:30464
	ds_load_b128 v[208:211], v165 offset:14080
	s_waitcnt lgkmcnt(2)
	;;#ASMSTART
	
             v_fmac_f32 v128, v180, v192 
             
	;;#ASMEND
	;;#ASMSTART
	
             v_fmac_f32 v129, v180, v193 
             
	;;#ASMEND
	;; [unrolled: 5-line block ×16, first 2 shown]
	s_waitcnt lgkmcnt(1)
	;;#ASMSTART
	
             v_fmac_f32 v116, v180, v196 
             
	;;#ASMEND
	;;#ASMSTART
	
             v_fmac_f32 v117, v180, v197 
             
	;;#ASMEND
	;; [unrolled: 5-line block ×16, first 2 shown]
	ds_load_b128 v[180:183], v165 offset:14336
	s_waitcnt lgkmcnt(1)
	;;#ASMSTART
	
             v_fmac_f32 v18, v208, v192 
             
	;;#ASMEND
	;;#ASMSTART
	
             v_fmac_f32 v19, v208, v193 
             
	;;#ASMEND
	;; [unrolled: 5-line block ×16, first 2 shown]
	ds_load_b128 v[192:195], v166 offset:30720
	;;#ASMSTART
	
             v_fmac_f32 v22, v208, v196 
             
	;;#ASMEND
	;;#ASMSTART
	
             v_fmac_f32 v23, v208, v197 
             
	;;#ASMEND
	;; [unrolled: 5-line block ×16, first 2 shown]
	ds_load_b128 v[196:199], v166 offset:30976
	ds_load_b128 v[208:211], v165 offset:14592
	s_waitcnt lgkmcnt(2)
	;;#ASMSTART
	
             v_fmac_f32 v128, v180, v192 
             
	;;#ASMEND
	;;#ASMSTART
	
             v_fmac_f32 v129, v180, v193 
             
	;;#ASMEND
	;; [unrolled: 5-line block ×16, first 2 shown]
	s_waitcnt lgkmcnt(1)
	;;#ASMSTART
	
             v_fmac_f32 v116, v180, v196 
             
	;;#ASMEND
	;;#ASMSTART
	
             v_fmac_f32 v117, v180, v197 
             
	;;#ASMEND
	;; [unrolled: 5-line block ×16, first 2 shown]
	ds_load_b128 v[180:183], v165 offset:14848
	s_waitcnt lgkmcnt(1)
	;;#ASMSTART
	
             v_fmac_f32 v18, v208, v192 
             
	;;#ASMEND
	;;#ASMSTART
	
             v_fmac_f32 v19, v208, v193 
             
	;;#ASMEND
	;;#ASMSTART
	
             v_fmac_f32 v20, v208, v194 
             
	;;#ASMEND
	;;#ASMSTART
	
             v_fmac_f32 v21, v208, v195 
             
	;;#ASMEND
	;;#ASMSTART
	
             v_fmac_f32 v30, v209, v192 
             
	;;#ASMEND
	;;#ASMSTART
	
             v_fmac_f32 v31, v209, v193 
             
	;;#ASMEND
	;;#ASMSTART
	
             v_fmac_f32 v32, v209, v194 
             
	;;#ASMEND
	;;#ASMSTART
	
             v_fmac_f32 v33, v209, v195 
             
	;;#ASMEND
	;;#ASMSTART
	
             v_fmac_f32 v34, v210, v192 
             
	;;#ASMEND
	;;#ASMSTART
	
             v_fmac_f32 v35, v210, v193 
             
	;;#ASMEND
	;;#ASMSTART
	
             v_fmac_f32 v36, v210, v194 
             
	;;#ASMEND
	;;#ASMSTART
	
             v_fmac_f32 v37, v210, v195 
             
	;;#ASMEND
	;;#ASMSTART
	
             v_fmac_f32 v64, v211, v192 
             
	;;#ASMEND
	;;#ASMSTART
	
             v_fmac_f32 v65, v211, v193 
             
	;;#ASMEND
	;;#ASMSTART
	
             v_fmac_f32 v66, v211, v194 
             
	;;#ASMEND
	;;#ASMSTART
	
             v_fmac_f32 v67, v211, v195 
             
	;;#ASMEND
	ds_load_b128 v[192:195], v166 offset:31232
	;;#ASMSTART
	
             v_fmac_f32 v22, v208, v196 
             
	;;#ASMEND
	;;#ASMSTART
	
             v_fmac_f32 v23, v208, v197 
             
	;;#ASMEND
	;; [unrolled: 5-line block ×16, first 2 shown]
	ds_load_b128 v[196:199], v166 offset:31488
	ds_load_b128 v[208:211], v165 offset:15104
	s_waitcnt lgkmcnt(2)
	;;#ASMSTART
	
             v_fmac_f32 v128, v180, v192 
             
	;;#ASMEND
	;;#ASMSTART
	
             v_fmac_f32 v129, v180, v193 
             
	;;#ASMEND
	;; [unrolled: 5-line block ×16, first 2 shown]
	s_waitcnt lgkmcnt(1)
	;;#ASMSTART
	
             v_fmac_f32 v116, v180, v196 
             
	;;#ASMEND
	;;#ASMSTART
	
             v_fmac_f32 v117, v180, v197 
             
	;;#ASMEND
	;; [unrolled: 5-line block ×16, first 2 shown]
	ds_load_b128 v[180:183], v165 offset:15360
	s_waitcnt lgkmcnt(1)
	;;#ASMSTART
	
             v_fmac_f32 v18, v208, v192 
             
	;;#ASMEND
	;;#ASMSTART
	
             v_fmac_f32 v19, v208, v193 
             
	;;#ASMEND
	;; [unrolled: 5-line block ×16, first 2 shown]
	ds_load_b128 v[192:195], v166 offset:31744
	;;#ASMSTART
	
             v_fmac_f32 v22, v208, v196 
             
	;;#ASMEND
	;;#ASMSTART
	
             v_fmac_f32 v23, v208, v197 
             
	;;#ASMEND
	;;#ASMSTART
	
             v_fmac_f32 v24, v208, v198 
             
	;;#ASMEND
	;;#ASMSTART
	
             v_fmac_f32 v25, v208, v199 
             
	;;#ASMEND
	;;#ASMSTART
	
             v_fmac_f32 v26, v209, v196 
             
	;;#ASMEND
	;;#ASMSTART
	
             v_fmac_f32 v27, v209, v197 
             
	;;#ASMEND
	;;#ASMSTART
	
             v_fmac_f32 v28, v209, v198 
             
	;;#ASMEND
	;;#ASMSTART
	
             v_fmac_f32 v29, v209, v199 
             
	;;#ASMEND
	;;#ASMSTART
	
             v_fmac_f32 v48, v210, v196 
             
	;;#ASMEND
	;;#ASMSTART
	
             v_fmac_f32 v49, v210, v197 
             
	;;#ASMEND
	;;#ASMSTART
	
             v_fmac_f32 v50, v210, v198 
             
	;;#ASMEND
	;;#ASMSTART
	
             v_fmac_f32 v51, v210, v199 
             
	;;#ASMEND
	;;#ASMSTART
	
             v_fmac_f32 v52, v211, v196 
             
	;;#ASMEND
	;;#ASMSTART
	
             v_fmac_f32 v53, v211, v197 
             
	;;#ASMEND
	;;#ASMSTART
	
             v_fmac_f32 v54, v211, v198 
             
	;;#ASMEND
	;;#ASMSTART
	
             v_fmac_f32 v55, v211, v199 
             
	;;#ASMEND
	ds_load_b128 v[196:199], v166 offset:32000
	ds_load_b128 v[208:211], v165 offset:15616
	s_waitcnt lgkmcnt(2)
	;;#ASMSTART
	
             v_fmac_f32 v128, v180, v192 
             
	;;#ASMEND
	;;#ASMSTART
	
             v_fmac_f32 v129, v180, v193 
             
	;;#ASMEND
	;; [unrolled: 5-line block ×16, first 2 shown]
	s_waitcnt lgkmcnt(1)
	;;#ASMSTART
	
             v_fmac_f32 v116, v180, v196 
             
	;;#ASMEND
	;;#ASMSTART
	
             v_fmac_f32 v117, v180, v197 
             
	;;#ASMEND
	;; [unrolled: 5-line block ×16, first 2 shown]
	ds_load_b128 v[180:183], v165 offset:15872
	s_waitcnt lgkmcnt(1)
	;;#ASMSTART
	
             v_fmac_f32 v18, v208, v192 
             
	;;#ASMEND
	;;#ASMSTART
	
             v_fmac_f32 v19, v208, v193 
             
	;;#ASMEND
	;; [unrolled: 5-line block ×16, first 2 shown]
	ds_load_b128 v[192:195], v166 offset:32256
	;;#ASMSTART
	
             v_fmac_f32 v22, v208, v196 
             
	;;#ASMEND
	;;#ASMSTART
	
             v_fmac_f32 v23, v208, v197 
             
	;;#ASMEND
	;; [unrolled: 5-line block ×16, first 2 shown]
	ds_load_b128 v[196:199], v166 offset:32512
	ds_load_b128 v[208:211], v165 offset:16128
	v_cmp_ge_i32_e32 vcc_lo, s8, v179
	s_waitcnt lgkmcnt(2)
	;;#ASMSTART
	
             v_fmac_f32 v128, v180, v192 
             
	;;#ASMEND
	;;#ASMSTART
	
             v_fmac_f32 v129, v180, v193 
             
	;;#ASMEND
	;; [unrolled: 5-line block ×4, first 2 shown]
	s_or_b32 s3, vcc_lo, s3
	;;#ASMSTART
	
             v_fmac_f32 v100, v181, v192 
             
	;;#ASMEND
	;;#ASMSTART
	
             v_fmac_f32 v101, v181, v193 
             
	;;#ASMEND
	;; [unrolled: 5-line block ×12, first 2 shown]
	s_waitcnt lgkmcnt(1)
	;;#ASMSTART
	
             v_fmac_f32 v116, v180, v196 
             
	;;#ASMEND
	;;#ASMSTART
	
             v_fmac_f32 v117, v180, v197 
             
	;;#ASMEND
	;;#ASMSTART
	
             v_fmac_f32 v118, v180, v198 
             
	;;#ASMEND
	;;#ASMSTART
	
             v_fmac_f32 v119, v180, v199 
             
	;;#ASMEND
	;;#ASMSTART
	
             v_fmac_f32 v112, v181, v196 
             
	;;#ASMEND
	;;#ASMSTART
	
             v_fmac_f32 v113, v181, v197 
             
	;;#ASMEND
	;;#ASMSTART
	
             v_fmac_f32 v114, v181, v198 
             
	;;#ASMEND
	;;#ASMSTART
	
             v_fmac_f32 v115, v181, v199 
             
	;;#ASMEND
	;;#ASMSTART
	
             v_fmac_f32 v84, v182, v196 
             
	;;#ASMEND
	;;#ASMSTART
	
             v_fmac_f32 v85, v182, v197 
             
	;;#ASMEND
	;;#ASMSTART
	
             v_fmac_f32 v86, v182, v198 
             
	;;#ASMEND
	;;#ASMSTART
	
             v_fmac_f32 v87, v182, v199 
             
	;;#ASMEND
	;;#ASMSTART
	
             v_fmac_f32 v80, v183, v196 
             
	;;#ASMEND
	;;#ASMSTART
	
             v_fmac_f32 v81, v183, v197 
             
	;;#ASMEND
	;;#ASMSTART
	
             v_fmac_f32 v82, v183, v198 
             
	;;#ASMEND
	;;#ASMSTART
	
             v_fmac_f32 v83, v183, v199 
             
	;;#ASMEND
	s_waitcnt lgkmcnt(0)
	;;#ASMSTART
	
             v_fmac_f32 v18, v208, v192 
             
	;;#ASMEND
	;;#ASMSTART
	
             v_fmac_f32 v19, v208, v193 
             
	;;#ASMEND
	;; [unrolled: 5-line block ×32, first 2 shown]
	ds_store_b128 v167, v[132:135]
	ds_store_b128 v167, v[144:147] offset:512
	ds_store_b128 v167, v[148:151] offset:16384
	ds_store_b128 v178, v[160:163] offset:512
	s_and_not1_b32 exec_lo, exec_lo, s3
	s_cbranch_execnz .LBB1_9
; %bb.26:
	s_or_b32 exec_lo, exec_lo, s3
	flat_load_b32 v132, v[6:7] offset:12
	flat_load_b32 v133, v[8:9] offset:8
	s_mov_b32 s3, exec_lo
	s_waitcnt vmcnt(0) lgkmcnt(0)
	s_barrier
	v_mad_u64_u32 v[144:145], null, v132, 15, v[13:14]
	v_mad_u64_u32 v[148:149], null, v133, 15, v[38:39]
	s_delay_alu instid0(VALU_DEP_2)
	v_lshlrev_b32_e32 v13, 2, v144
.LBB1_27:                               ; =>This Inner Loop Header: Depth=1
	v_readfirstlane_b32 s4, v0
	v_readfirstlane_b32 s5, v1
	;; [unrolled: 1-line block ×4, first 2 shown]
	s_delay_alu instid0(VALU_DEP_3) | instskip(NEXT) | instid1(VALU_DEP_2)
	v_cmp_eq_u64_e32 vcc_lo, s[4:5], v[0:1]
	v_cmp_eq_u64_e64 s0, s[6:7], v[2:3]
	s_delay_alu instid0(VALU_DEP_1) | instskip(NEXT) | instid1(SALU_CYCLE_1)
	s_and_b32 s0, vcc_lo, s0
	s_and_saveexec_b32 s0, s0
	buffer_load_b128 v[132:135], v13, s[4:7], 0 offen
                                        ; implicit-def: $vgpr13
	s_xor_b32 exec_lo, exec_lo, s0
	s_cbranch_execnz .LBB1_27
; %bb.28:
	s_mov_b32 exec_lo, s3
	flat_load_b32 v6, v[6:7] offset:12
	s_mov_b32 s3, exec_lo
	s_waitcnt vmcnt(0) lgkmcnt(0)
	v_add_lshl_u32 v6, v6, v144, 2
.LBB1_29:                               ; =>This Inner Loop Header: Depth=1
	v_readfirstlane_b32 s4, v0
	v_readfirstlane_b32 s5, v1
	;; [unrolled: 1-line block ×4, first 2 shown]
	s_delay_alu instid0(VALU_DEP_3) | instskip(NEXT) | instid1(VALU_DEP_2)
	v_cmp_eq_u64_e32 vcc_lo, s[4:5], v[0:1]
	v_cmp_eq_u64_e64 s0, s[6:7], v[2:3]
	s_delay_alu instid0(VALU_DEP_1) | instskip(NEXT) | instid1(SALU_CYCLE_1)
	s_and_b32 s0, vcc_lo, s0
	s_and_saveexec_b32 s0, s0
	buffer_load_b128 v[144:147], v6, s[4:7], 0 offen
                                        ; implicit-def: $vgpr0_vgpr1_vgpr2_vgpr3
                                        ; implicit-def: $vgpr6
	s_xor_b32 exec_lo, exec_lo, s0
	s_cbranch_execnz .LBB1_29
; %bb.30:
	s_mov_b32 exec_lo, s3
	v_lshlrev_b32_e32 v6, 2, v148
	s_mov_b32 s3, exec_lo
.LBB1_31:                               ; =>This Inner Loop Header: Depth=1
	v_readfirstlane_b32 s4, v14
	v_readfirstlane_b32 s5, v15
	;; [unrolled: 1-line block ×4, first 2 shown]
	s_delay_alu instid0(VALU_DEP_3) | instskip(NEXT) | instid1(VALU_DEP_2)
	v_cmp_eq_u64_e32 vcc_lo, s[4:5], v[14:15]
	v_cmp_eq_u64_e64 s0, s[6:7], v[16:17]
	s_delay_alu instid0(VALU_DEP_1) | instskip(NEXT) | instid1(SALU_CYCLE_1)
	s_and_b32 s0, vcc_lo, s0
	s_and_saveexec_b32 s0, s0
	buffer_load_b128 v[0:3], v6, s[4:7], 0 offen
                                        ; implicit-def: $vgpr6
	s_xor_b32 exec_lo, exec_lo, s0
	s_cbranch_execnz .LBB1_31
; %bb.32:
	s_mov_b32 exec_lo, s3
	flat_load_b32 v6, v[8:9] offset:8
	s_mov_b32 s3, exec_lo
	s_waitcnt vmcnt(0) lgkmcnt(0)
	v_add_lshl_u32 v13, v6, v148, 2
.LBB1_33:                               ; =>This Inner Loop Header: Depth=1
	v_readfirstlane_b32 s4, v14
	v_readfirstlane_b32 s5, v15
	;; [unrolled: 1-line block ×4, first 2 shown]
	s_delay_alu instid0(VALU_DEP_3) | instskip(NEXT) | instid1(VALU_DEP_2)
	v_cmp_eq_u64_e32 vcc_lo, s[4:5], v[14:15]
	v_cmp_eq_u64_e64 s0, s[6:7], v[16:17]
	s_delay_alu instid0(VALU_DEP_1) | instskip(NEXT) | instid1(SALU_CYCLE_1)
	s_and_b32 s0, vcc_lo, s0
	s_and_saveexec_b32 s0, s0
	buffer_load_b128 v[6:9], v13, s[4:7], 0 offen
                                        ; implicit-def: $vgpr14_vgpr15_vgpr16_vgpr17
                                        ; implicit-def: $vgpr13
	s_xor_b32 exec_lo, exec_lo, s0
	s_cbranch_execnz .LBB1_33
; %bb.34:
	s_mov_b32 exec_lo, s3
	ds_load_b128 v[13:16], v165
	ds_load_b128 v[148:151], v166 offset:16384
	ds_load_b128 v[160:163], v166 offset:16640
	;; [unrolled: 1-line block ×3, first 2 shown]
	s_waitcnt lgkmcnt(2)
	;;#ASMSTART
	
             v_fmac_f32 v128, v13, v148 
             
	;;#ASMEND
	;;#ASMSTART
	
             v_fmac_f32 v129, v13, v149 
             
	;;#ASMEND
	;;#ASMSTART
	
             v_fmac_f32 v130, v13, v150 
             
	;;#ASMEND
	;;#ASMSTART
	
             v_fmac_f32 v131, v13, v151 
             
	;;#ASMEND
	;;#ASMSTART
	
             v_fmac_f32 v100, v14, v148 
             
	;;#ASMEND
	;;#ASMSTART
	
             v_fmac_f32 v101, v14, v149 
             
	;;#ASMEND
	;;#ASMSTART
	
             v_fmac_f32 v102, v14, v150 
             
	;;#ASMEND
	;;#ASMSTART
	
             v_fmac_f32 v103, v14, v151 
             
	;;#ASMEND
	;;#ASMSTART
	
             v_fmac_f32 v96, v15, v148 
             
	;;#ASMEND
	;;#ASMSTART
	
             v_fmac_f32 v97, v15, v149 
             
	;;#ASMEND
	;;#ASMSTART
	
             v_fmac_f32 v98, v15, v150 
             
	;;#ASMEND
	;;#ASMSTART
	
             v_fmac_f32 v99, v15, v151 
             
	;;#ASMEND
	;;#ASMSTART
	
             v_fmac_f32 v68, v16, v148 
             
	;;#ASMEND
	;;#ASMSTART
	
             v_fmac_f32 v69, v16, v149 
             
	;;#ASMEND
	;;#ASMSTART
	
             v_fmac_f32 v70, v16, v150 
             
	;;#ASMEND
	;;#ASMSTART
	
             v_fmac_f32 v71, v16, v151 
             
	;;#ASMEND
	s_waitcnt lgkmcnt(1)
	;;#ASMSTART
	
             v_fmac_f32 v116, v13, v160 
             
	;;#ASMEND
	;;#ASMSTART
	
             v_fmac_f32 v117, v13, v161 
             
	;;#ASMEND
	;; [unrolled: 5-line block ×16, first 2 shown]
	ds_load_b128 v[13:16], v165 offset:512
	s_waitcnt lgkmcnt(1)
	;;#ASMSTART
	
             v_fmac_f32 v18, v178, v148 
             
	;;#ASMEND
	;;#ASMSTART
	
             v_fmac_f32 v19, v178, v149 
             
	;;#ASMEND
	;; [unrolled: 5-line block ×16, first 2 shown]
	ds_load_b128 v[148:151], v166 offset:16896
	;;#ASMSTART
	
             v_fmac_f32 v22, v178, v160 
             
	;;#ASMEND
	;;#ASMSTART
	
             v_fmac_f32 v23, v178, v161 
             
	;;#ASMEND
	;; [unrolled: 5-line block ×16, first 2 shown]
	ds_load_b128 v[160:163], v166 offset:17152
	ds_load_b128 v[178:181], v165 offset:768
	s_waitcnt lgkmcnt(2)
	;;#ASMSTART
	
             v_fmac_f32 v128, v13, v148 
             
	;;#ASMEND
	;;#ASMSTART
	
             v_fmac_f32 v129, v13, v149 
             
	;;#ASMEND
	;;#ASMSTART
	
             v_fmac_f32 v130, v13, v150 
             
	;;#ASMEND
	;;#ASMSTART
	
             v_fmac_f32 v131, v13, v151 
             
	;;#ASMEND
	;;#ASMSTART
	
             v_fmac_f32 v100, v14, v148 
             
	;;#ASMEND
	;;#ASMSTART
	
             v_fmac_f32 v101, v14, v149 
             
	;;#ASMEND
	;;#ASMSTART
	
             v_fmac_f32 v102, v14, v150 
             
	;;#ASMEND
	;;#ASMSTART
	
             v_fmac_f32 v103, v14, v151 
             
	;;#ASMEND
	;;#ASMSTART
	
             v_fmac_f32 v96, v15, v148 
             
	;;#ASMEND
	;;#ASMSTART
	
             v_fmac_f32 v97, v15, v149 
             
	;;#ASMEND
	;;#ASMSTART
	
             v_fmac_f32 v98, v15, v150 
             
	;;#ASMEND
	;;#ASMSTART
	
             v_fmac_f32 v99, v15, v151 
             
	;;#ASMEND
	;;#ASMSTART
	
             v_fmac_f32 v68, v16, v148 
             
	;;#ASMEND
	;;#ASMSTART
	
             v_fmac_f32 v69, v16, v149 
             
	;;#ASMEND
	;;#ASMSTART
	
             v_fmac_f32 v70, v16, v150 
             
	;;#ASMEND
	;;#ASMSTART
	
             v_fmac_f32 v71, v16, v151 
             
	;;#ASMEND
	s_waitcnt lgkmcnt(1)
	;;#ASMSTART
	
             v_fmac_f32 v116, v13, v160 
             
	;;#ASMEND
	;;#ASMSTART
	
             v_fmac_f32 v117, v13, v161 
             
	;;#ASMEND
	;; [unrolled: 5-line block ×16, first 2 shown]
	ds_load_b128 v[13:16], v165 offset:1024
	s_waitcnt lgkmcnt(1)
	;;#ASMSTART
	
             v_fmac_f32 v18, v178, v148 
             
	;;#ASMEND
	;;#ASMSTART
	
             v_fmac_f32 v19, v178, v149 
             
	;;#ASMEND
	;; [unrolled: 5-line block ×16, first 2 shown]
	ds_load_b128 v[148:151], v166 offset:17408
	;;#ASMSTART
	
             v_fmac_f32 v22, v178, v160 
             
	;;#ASMEND
	;;#ASMSTART
	
             v_fmac_f32 v23, v178, v161 
             
	;;#ASMEND
	;; [unrolled: 5-line block ×16, first 2 shown]
	ds_load_b128 v[160:163], v166 offset:17664
	ds_load_b128 v[178:181], v165 offset:1280
	s_waitcnt lgkmcnt(2)
	;;#ASMSTART
	
             v_fmac_f32 v128, v13, v148 
             
	;;#ASMEND
	;;#ASMSTART
	
             v_fmac_f32 v129, v13, v149 
             
	;;#ASMEND
	;; [unrolled: 5-line block ×16, first 2 shown]
	s_waitcnt lgkmcnt(1)
	;;#ASMSTART
	
             v_fmac_f32 v116, v13, v160 
             
	;;#ASMEND
	;;#ASMSTART
	
             v_fmac_f32 v117, v13, v161 
             
	;;#ASMEND
	;; [unrolled: 5-line block ×16, first 2 shown]
	ds_load_b128 v[13:16], v165 offset:1536
	s_waitcnt lgkmcnt(1)
	;;#ASMSTART
	
             v_fmac_f32 v18, v178, v148 
             
	;;#ASMEND
	;;#ASMSTART
	
             v_fmac_f32 v19, v178, v149 
             
	;;#ASMEND
	;; [unrolled: 5-line block ×16, first 2 shown]
	ds_load_b128 v[148:151], v166 offset:17920
	;;#ASMSTART
	
             v_fmac_f32 v22, v178, v160 
             
	;;#ASMEND
	;;#ASMSTART
	
             v_fmac_f32 v23, v178, v161 
             
	;;#ASMEND
	;; [unrolled: 5-line block ×16, first 2 shown]
	ds_load_b128 v[160:163], v166 offset:18176
	ds_load_b128 v[178:181], v165 offset:1792
	s_waitcnt lgkmcnt(2)
	;;#ASMSTART
	
             v_fmac_f32 v128, v13, v148 
             
	;;#ASMEND
	;;#ASMSTART
	
             v_fmac_f32 v129, v13, v149 
             
	;;#ASMEND
	;; [unrolled: 5-line block ×16, first 2 shown]
	s_waitcnt lgkmcnt(1)
	;;#ASMSTART
	
             v_fmac_f32 v116, v13, v160 
             
	;;#ASMEND
	;;#ASMSTART
	
             v_fmac_f32 v117, v13, v161 
             
	;;#ASMEND
	;; [unrolled: 5-line block ×16, first 2 shown]
	ds_load_b128 v[13:16], v165 offset:2048
	s_waitcnt lgkmcnt(1)
	;;#ASMSTART
	
             v_fmac_f32 v18, v178, v148 
             
	;;#ASMEND
	;;#ASMSTART
	
             v_fmac_f32 v19, v178, v149 
             
	;;#ASMEND
	;; [unrolled: 5-line block ×16, first 2 shown]
	ds_load_b128 v[148:151], v166 offset:18432
	;;#ASMSTART
	
             v_fmac_f32 v22, v178, v160 
             
	;;#ASMEND
	;;#ASMSTART
	
             v_fmac_f32 v23, v178, v161 
             
	;;#ASMEND
	;; [unrolled: 5-line block ×16, first 2 shown]
	ds_load_b128 v[160:163], v166 offset:18688
	ds_load_b128 v[178:181], v165 offset:2304
	s_waitcnt lgkmcnt(2)
	;;#ASMSTART
	
             v_fmac_f32 v128, v13, v148 
             
	;;#ASMEND
	;;#ASMSTART
	
             v_fmac_f32 v129, v13, v149 
             
	;;#ASMEND
	;; [unrolled: 5-line block ×16, first 2 shown]
	s_waitcnt lgkmcnt(1)
	;;#ASMSTART
	
             v_fmac_f32 v116, v13, v160 
             
	;;#ASMEND
	;;#ASMSTART
	
             v_fmac_f32 v117, v13, v161 
             
	;;#ASMEND
	;; [unrolled: 5-line block ×16, first 2 shown]
	ds_load_b128 v[13:16], v165 offset:2560
	s_waitcnt lgkmcnt(1)
	;;#ASMSTART
	
             v_fmac_f32 v18, v178, v148 
             
	;;#ASMEND
	;;#ASMSTART
	
             v_fmac_f32 v19, v178, v149 
             
	;;#ASMEND
	;; [unrolled: 5-line block ×16, first 2 shown]
	ds_load_b128 v[148:151], v166 offset:18944
	;;#ASMSTART
	
             v_fmac_f32 v22, v178, v160 
             
	;;#ASMEND
	;;#ASMSTART
	
             v_fmac_f32 v23, v178, v161 
             
	;;#ASMEND
	;; [unrolled: 5-line block ×16, first 2 shown]
	ds_load_b128 v[160:163], v166 offset:19200
	ds_load_b128 v[178:181], v165 offset:2816
	s_waitcnt lgkmcnt(2)
	;;#ASMSTART
	
             v_fmac_f32 v128, v13, v148 
             
	;;#ASMEND
	;;#ASMSTART
	
             v_fmac_f32 v129, v13, v149 
             
	;;#ASMEND
	;; [unrolled: 5-line block ×16, first 2 shown]
	s_waitcnt lgkmcnt(1)
	;;#ASMSTART
	
             v_fmac_f32 v116, v13, v160 
             
	;;#ASMEND
	;;#ASMSTART
	
             v_fmac_f32 v117, v13, v161 
             
	;;#ASMEND
	;; [unrolled: 5-line block ×16, first 2 shown]
	ds_load_b128 v[13:16], v165 offset:3072
	s_waitcnt lgkmcnt(1)
	;;#ASMSTART
	
             v_fmac_f32 v18, v178, v148 
             
	;;#ASMEND
	;;#ASMSTART
	
             v_fmac_f32 v19, v178, v149 
             
	;;#ASMEND
	;; [unrolled: 5-line block ×16, first 2 shown]
	ds_load_b128 v[148:151], v166 offset:19456
	;;#ASMSTART
	
             v_fmac_f32 v22, v178, v160 
             
	;;#ASMEND
	;;#ASMSTART
	
             v_fmac_f32 v23, v178, v161 
             
	;;#ASMEND
	;; [unrolled: 5-line block ×16, first 2 shown]
	ds_load_b128 v[160:163], v166 offset:19712
	ds_load_b128 v[178:181], v165 offset:3328
	s_waitcnt lgkmcnt(2)
	;;#ASMSTART
	
             v_fmac_f32 v128, v13, v148 
             
	;;#ASMEND
	;;#ASMSTART
	
             v_fmac_f32 v129, v13, v149 
             
	;;#ASMEND
	;; [unrolled: 5-line block ×16, first 2 shown]
	s_waitcnt lgkmcnt(1)
	;;#ASMSTART
	
             v_fmac_f32 v116, v13, v160 
             
	;;#ASMEND
	;;#ASMSTART
	
             v_fmac_f32 v117, v13, v161 
             
	;;#ASMEND
	;; [unrolled: 5-line block ×16, first 2 shown]
	ds_load_b128 v[13:16], v165 offset:3584
	s_waitcnt lgkmcnt(1)
	;;#ASMSTART
	
             v_fmac_f32 v18, v178, v148 
             
	;;#ASMEND
	;;#ASMSTART
	
             v_fmac_f32 v19, v178, v149 
             
	;;#ASMEND
	;;#ASMSTART
	
             v_fmac_f32 v20, v178, v150 
             
	;;#ASMEND
	;;#ASMSTART
	
             v_fmac_f32 v21, v178, v151 
             
	;;#ASMEND
	;;#ASMSTART
	
             v_fmac_f32 v30, v179, v148 
             
	;;#ASMEND
	;;#ASMSTART
	
             v_fmac_f32 v31, v179, v149 
             
	;;#ASMEND
	;;#ASMSTART
	
             v_fmac_f32 v32, v179, v150 
             
	;;#ASMEND
	;;#ASMSTART
	
             v_fmac_f32 v33, v179, v151 
             
	;;#ASMEND
	;;#ASMSTART
	
             v_fmac_f32 v34, v180, v148 
             
	;;#ASMEND
	;;#ASMSTART
	
             v_fmac_f32 v35, v180, v149 
             
	;;#ASMEND
	;;#ASMSTART
	
             v_fmac_f32 v36, v180, v150 
             
	;;#ASMEND
	;;#ASMSTART
	
             v_fmac_f32 v37, v180, v151 
             
	;;#ASMEND
	;;#ASMSTART
	
             v_fmac_f32 v64, v181, v148 
             
	;;#ASMEND
	;;#ASMSTART
	
             v_fmac_f32 v65, v181, v149 
             
	;;#ASMEND
	;;#ASMSTART
	
             v_fmac_f32 v66, v181, v150 
             
	;;#ASMEND
	;;#ASMSTART
	
             v_fmac_f32 v67, v181, v151 
             
	;;#ASMEND
	ds_load_b128 v[148:151], v166 offset:19968
	;;#ASMSTART
	
             v_fmac_f32 v22, v178, v160 
             
	;;#ASMEND
	;;#ASMSTART
	
             v_fmac_f32 v23, v178, v161 
             
	;;#ASMEND
	;; [unrolled: 5-line block ×16, first 2 shown]
	ds_load_b128 v[160:163], v166 offset:20224
	ds_load_b128 v[178:181], v165 offset:3840
	s_waitcnt lgkmcnt(2)
	;;#ASMSTART
	
             v_fmac_f32 v128, v13, v148 
             
	;;#ASMEND
	;;#ASMSTART
	
             v_fmac_f32 v129, v13, v149 
             
	;;#ASMEND
	;; [unrolled: 5-line block ×16, first 2 shown]
	s_waitcnt lgkmcnt(1)
	;;#ASMSTART
	
             v_fmac_f32 v116, v13, v160 
             
	;;#ASMEND
	;;#ASMSTART
	
             v_fmac_f32 v117, v13, v161 
             
	;;#ASMEND
	;; [unrolled: 5-line block ×16, first 2 shown]
	ds_load_b128 v[13:16], v165 offset:4096
	s_waitcnt lgkmcnt(1)
	;;#ASMSTART
	
             v_fmac_f32 v18, v178, v148 
             
	;;#ASMEND
	;;#ASMSTART
	
             v_fmac_f32 v19, v178, v149 
             
	;;#ASMEND
	;; [unrolled: 5-line block ×16, first 2 shown]
	ds_load_b128 v[148:151], v166 offset:20480
	;;#ASMSTART
	
             v_fmac_f32 v22, v178, v160 
             
	;;#ASMEND
	;;#ASMSTART
	
             v_fmac_f32 v23, v178, v161 
             
	;;#ASMEND
	;;#ASMSTART
	
             v_fmac_f32 v24, v178, v162 
             
	;;#ASMEND
	;;#ASMSTART
	
             v_fmac_f32 v25, v178, v163 
             
	;;#ASMEND
	;;#ASMSTART
	
             v_fmac_f32 v26, v179, v160 
             
	;;#ASMEND
	;;#ASMSTART
	
             v_fmac_f32 v27, v179, v161 
             
	;;#ASMEND
	;;#ASMSTART
	
             v_fmac_f32 v28, v179, v162 
             
	;;#ASMEND
	;;#ASMSTART
	
             v_fmac_f32 v29, v179, v163 
             
	;;#ASMEND
	;;#ASMSTART
	
             v_fmac_f32 v48, v180, v160 
             
	;;#ASMEND
	;;#ASMSTART
	
             v_fmac_f32 v49, v180, v161 
             
	;;#ASMEND
	;;#ASMSTART
	
             v_fmac_f32 v50, v180, v162 
             
	;;#ASMEND
	;;#ASMSTART
	
             v_fmac_f32 v51, v180, v163 
             
	;;#ASMEND
	;;#ASMSTART
	
             v_fmac_f32 v52, v181, v160 
             
	;;#ASMEND
	;;#ASMSTART
	
             v_fmac_f32 v53, v181, v161 
             
	;;#ASMEND
	;;#ASMSTART
	
             v_fmac_f32 v54, v181, v162 
             
	;;#ASMEND
	;;#ASMSTART
	
             v_fmac_f32 v55, v181, v163 
             
	;;#ASMEND
	ds_load_b128 v[160:163], v166 offset:20736
	ds_load_b128 v[178:181], v165 offset:4352
	s_waitcnt lgkmcnt(2)
	;;#ASMSTART
	
             v_fmac_f32 v128, v13, v148 
             
	;;#ASMEND
	;;#ASMSTART
	
             v_fmac_f32 v129, v13, v149 
             
	;;#ASMEND
	;; [unrolled: 5-line block ×16, first 2 shown]
	s_waitcnt lgkmcnt(1)
	;;#ASMSTART
	
             v_fmac_f32 v116, v13, v160 
             
	;;#ASMEND
	;;#ASMSTART
	
             v_fmac_f32 v117, v13, v161 
             
	;;#ASMEND
	;; [unrolled: 5-line block ×16, first 2 shown]
	ds_load_b128 v[13:16], v165 offset:4608
	s_waitcnt lgkmcnt(1)
	;;#ASMSTART
	
             v_fmac_f32 v18, v178, v148 
             
	;;#ASMEND
	;;#ASMSTART
	
             v_fmac_f32 v19, v178, v149 
             
	;;#ASMEND
	;; [unrolled: 5-line block ×16, first 2 shown]
	ds_load_b128 v[148:151], v166 offset:20992
	;;#ASMSTART
	
             v_fmac_f32 v22, v178, v160 
             
	;;#ASMEND
	;;#ASMSTART
	
             v_fmac_f32 v23, v178, v161 
             
	;;#ASMEND
	;;#ASMSTART
	
             v_fmac_f32 v24, v178, v162 
             
	;;#ASMEND
	;;#ASMSTART
	
             v_fmac_f32 v25, v178, v163 
             
	;;#ASMEND
	;;#ASMSTART
	
             v_fmac_f32 v26, v179, v160 
             
	;;#ASMEND
	;;#ASMSTART
	
             v_fmac_f32 v27, v179, v161 
             
	;;#ASMEND
	;;#ASMSTART
	
             v_fmac_f32 v28, v179, v162 
             
	;;#ASMEND
	;;#ASMSTART
	
             v_fmac_f32 v29, v179, v163 
             
	;;#ASMEND
	;;#ASMSTART
	
             v_fmac_f32 v48, v180, v160 
             
	;;#ASMEND
	;;#ASMSTART
	
             v_fmac_f32 v49, v180, v161 
             
	;;#ASMEND
	;;#ASMSTART
	
             v_fmac_f32 v50, v180, v162 
             
	;;#ASMEND
	;;#ASMSTART
	
             v_fmac_f32 v51, v180, v163 
             
	;;#ASMEND
	;;#ASMSTART
	
             v_fmac_f32 v52, v181, v160 
             
	;;#ASMEND
	;;#ASMSTART
	
             v_fmac_f32 v53, v181, v161 
             
	;;#ASMEND
	;;#ASMSTART
	
             v_fmac_f32 v54, v181, v162 
             
	;;#ASMEND
	;;#ASMSTART
	
             v_fmac_f32 v55, v181, v163 
             
	;;#ASMEND
	ds_load_b128 v[160:163], v166 offset:21248
	ds_load_b128 v[178:181], v165 offset:4864
	s_waitcnt lgkmcnt(2)
	;;#ASMSTART
	
             v_fmac_f32 v128, v13, v148 
             
	;;#ASMEND
	;;#ASMSTART
	
             v_fmac_f32 v129, v13, v149 
             
	;;#ASMEND
	;; [unrolled: 5-line block ×16, first 2 shown]
	s_waitcnt lgkmcnt(1)
	;;#ASMSTART
	
             v_fmac_f32 v116, v13, v160 
             
	;;#ASMEND
	;;#ASMSTART
	
             v_fmac_f32 v117, v13, v161 
             
	;;#ASMEND
	;; [unrolled: 5-line block ×16, first 2 shown]
	ds_load_b128 v[13:16], v165 offset:5120
	s_waitcnt lgkmcnt(1)
	;;#ASMSTART
	
             v_fmac_f32 v18, v178, v148 
             
	;;#ASMEND
	;;#ASMSTART
	
             v_fmac_f32 v19, v178, v149 
             
	;;#ASMEND
	;; [unrolled: 5-line block ×16, first 2 shown]
	ds_load_b128 v[148:151], v166 offset:21504
	;;#ASMSTART
	
             v_fmac_f32 v22, v178, v160 
             
	;;#ASMEND
	;;#ASMSTART
	
             v_fmac_f32 v23, v178, v161 
             
	;;#ASMEND
	;; [unrolled: 5-line block ×16, first 2 shown]
	ds_load_b128 v[160:163], v166 offset:21760
	ds_load_b128 v[178:181], v165 offset:5376
	s_waitcnt lgkmcnt(2)
	;;#ASMSTART
	
             v_fmac_f32 v128, v13, v148 
             
	;;#ASMEND
	;;#ASMSTART
	
             v_fmac_f32 v129, v13, v149 
             
	;;#ASMEND
	;; [unrolled: 5-line block ×16, first 2 shown]
	s_waitcnt lgkmcnt(1)
	;;#ASMSTART
	
             v_fmac_f32 v116, v13, v160 
             
	;;#ASMEND
	;;#ASMSTART
	
             v_fmac_f32 v117, v13, v161 
             
	;;#ASMEND
	;; [unrolled: 5-line block ×16, first 2 shown]
	ds_load_b128 v[13:16], v165 offset:5632
	s_waitcnt lgkmcnt(1)
	;;#ASMSTART
	
             v_fmac_f32 v18, v178, v148 
             
	;;#ASMEND
	;;#ASMSTART
	
             v_fmac_f32 v19, v178, v149 
             
	;;#ASMEND
	;; [unrolled: 5-line block ×16, first 2 shown]
	ds_load_b128 v[148:151], v166 offset:22016
	;;#ASMSTART
	
             v_fmac_f32 v22, v178, v160 
             
	;;#ASMEND
	;;#ASMSTART
	
             v_fmac_f32 v23, v178, v161 
             
	;;#ASMEND
	;; [unrolled: 5-line block ×16, first 2 shown]
	ds_load_b128 v[160:163], v166 offset:22272
	ds_load_b128 v[178:181], v165 offset:5888
	s_waitcnt lgkmcnt(2)
	;;#ASMSTART
	
             v_fmac_f32 v128, v13, v148 
             
	;;#ASMEND
	;;#ASMSTART
	
             v_fmac_f32 v129, v13, v149 
             
	;;#ASMEND
	;; [unrolled: 5-line block ×16, first 2 shown]
	s_waitcnt lgkmcnt(1)
	;;#ASMSTART
	
             v_fmac_f32 v116, v13, v160 
             
	;;#ASMEND
	;;#ASMSTART
	
             v_fmac_f32 v117, v13, v161 
             
	;;#ASMEND
	;; [unrolled: 5-line block ×16, first 2 shown]
	ds_load_b128 v[13:16], v165 offset:6144
	s_waitcnt lgkmcnt(1)
	;;#ASMSTART
	
             v_fmac_f32 v18, v178, v148 
             
	;;#ASMEND
	;;#ASMSTART
	
             v_fmac_f32 v19, v178, v149 
             
	;;#ASMEND
	;; [unrolled: 5-line block ×16, first 2 shown]
	ds_load_b128 v[148:151], v166 offset:22528
	;;#ASMSTART
	
             v_fmac_f32 v22, v178, v160 
             
	;;#ASMEND
	;;#ASMSTART
	
             v_fmac_f32 v23, v178, v161 
             
	;;#ASMEND
	;; [unrolled: 5-line block ×16, first 2 shown]
	ds_load_b128 v[160:163], v166 offset:22784
	ds_load_b128 v[178:181], v165 offset:6400
	s_waitcnt lgkmcnt(2)
	;;#ASMSTART
	
             v_fmac_f32 v128, v13, v148 
             
	;;#ASMEND
	;;#ASMSTART
	
             v_fmac_f32 v129, v13, v149 
             
	;;#ASMEND
	;;#ASMSTART
	
             v_fmac_f32 v130, v13, v150 
             
	;;#ASMEND
	;;#ASMSTART
	
             v_fmac_f32 v131, v13, v151 
             
	;;#ASMEND
	;;#ASMSTART
	
             v_fmac_f32 v100, v14, v148 
             
	;;#ASMEND
	;;#ASMSTART
	
             v_fmac_f32 v101, v14, v149 
             
	;;#ASMEND
	;;#ASMSTART
	
             v_fmac_f32 v102, v14, v150 
             
	;;#ASMEND
	;;#ASMSTART
	
             v_fmac_f32 v103, v14, v151 
             
	;;#ASMEND
	;;#ASMSTART
	
             v_fmac_f32 v96, v15, v148 
             
	;;#ASMEND
	;;#ASMSTART
	
             v_fmac_f32 v97, v15, v149 
             
	;;#ASMEND
	;;#ASMSTART
	
             v_fmac_f32 v98, v15, v150 
             
	;;#ASMEND
	;;#ASMSTART
	
             v_fmac_f32 v99, v15, v151 
             
	;;#ASMEND
	;;#ASMSTART
	
             v_fmac_f32 v68, v16, v148 
             
	;;#ASMEND
	;;#ASMSTART
	
             v_fmac_f32 v69, v16, v149 
             
	;;#ASMEND
	;;#ASMSTART
	
             v_fmac_f32 v70, v16, v150 
             
	;;#ASMEND
	;;#ASMSTART
	
             v_fmac_f32 v71, v16, v151 
             
	;;#ASMEND
	s_waitcnt lgkmcnt(1)
	;;#ASMSTART
	
             v_fmac_f32 v116, v13, v160 
             
	;;#ASMEND
	;;#ASMSTART
	
             v_fmac_f32 v117, v13, v161 
             
	;;#ASMEND
	;; [unrolled: 5-line block ×16, first 2 shown]
	ds_load_b128 v[13:16], v165 offset:6656
	s_waitcnt lgkmcnt(1)
	;;#ASMSTART
	
             v_fmac_f32 v18, v178, v148 
             
	;;#ASMEND
	;;#ASMSTART
	
             v_fmac_f32 v19, v178, v149 
             
	;;#ASMEND
	;; [unrolled: 5-line block ×16, first 2 shown]
	ds_load_b128 v[148:151], v166 offset:23040
	;;#ASMSTART
	
             v_fmac_f32 v22, v178, v160 
             
	;;#ASMEND
	;;#ASMSTART
	
             v_fmac_f32 v23, v178, v161 
             
	;;#ASMEND
	;; [unrolled: 5-line block ×16, first 2 shown]
	ds_load_b128 v[160:163], v166 offset:23296
	ds_load_b128 v[178:181], v165 offset:6912
	s_waitcnt lgkmcnt(2)
	;;#ASMSTART
	
             v_fmac_f32 v128, v13, v148 
             
	;;#ASMEND
	;;#ASMSTART
	
             v_fmac_f32 v129, v13, v149 
             
	;;#ASMEND
	;; [unrolled: 5-line block ×16, first 2 shown]
	s_waitcnt lgkmcnt(1)
	;;#ASMSTART
	
             v_fmac_f32 v116, v13, v160 
             
	;;#ASMEND
	;;#ASMSTART
	
             v_fmac_f32 v117, v13, v161 
             
	;;#ASMEND
	;; [unrolled: 5-line block ×16, first 2 shown]
	ds_load_b128 v[13:16], v165 offset:7168
	s_waitcnt lgkmcnt(1)
	;;#ASMSTART
	
             v_fmac_f32 v18, v178, v148 
             
	;;#ASMEND
	;;#ASMSTART
	
             v_fmac_f32 v19, v178, v149 
             
	;;#ASMEND
	;; [unrolled: 5-line block ×16, first 2 shown]
	ds_load_b128 v[148:151], v166 offset:23552
	;;#ASMSTART
	
             v_fmac_f32 v22, v178, v160 
             
	;;#ASMEND
	;;#ASMSTART
	
             v_fmac_f32 v23, v178, v161 
             
	;;#ASMEND
	;; [unrolled: 5-line block ×16, first 2 shown]
	ds_load_b128 v[160:163], v166 offset:23808
	ds_load_b128 v[178:181], v165 offset:7424
	s_waitcnt lgkmcnt(2)
	;;#ASMSTART
	
             v_fmac_f32 v128, v13, v148 
             
	;;#ASMEND
	;;#ASMSTART
	
             v_fmac_f32 v129, v13, v149 
             
	;;#ASMEND
	;; [unrolled: 5-line block ×16, first 2 shown]
	s_waitcnt lgkmcnt(1)
	;;#ASMSTART
	
             v_fmac_f32 v116, v13, v160 
             
	;;#ASMEND
	;;#ASMSTART
	
             v_fmac_f32 v117, v13, v161 
             
	;;#ASMEND
	;; [unrolled: 5-line block ×16, first 2 shown]
	ds_load_b128 v[13:16], v165 offset:7680
	s_waitcnt lgkmcnt(1)
	;;#ASMSTART
	
             v_fmac_f32 v18, v178, v148 
             
	;;#ASMEND
	;;#ASMSTART
	
             v_fmac_f32 v19, v178, v149 
             
	;;#ASMEND
	;; [unrolled: 5-line block ×16, first 2 shown]
	ds_load_b128 v[148:151], v166 offset:24064
	;;#ASMSTART
	
             v_fmac_f32 v22, v178, v160 
             
	;;#ASMEND
	;;#ASMSTART
	
             v_fmac_f32 v23, v178, v161 
             
	;;#ASMEND
	;; [unrolled: 5-line block ×16, first 2 shown]
	ds_load_b128 v[160:163], v166 offset:24320
	ds_load_b128 v[178:181], v165 offset:7936
	s_waitcnt lgkmcnt(2)
	;;#ASMSTART
	
             v_fmac_f32 v128, v13, v148 
             
	;;#ASMEND
	;;#ASMSTART
	
             v_fmac_f32 v129, v13, v149 
             
	;;#ASMEND
	;; [unrolled: 5-line block ×16, first 2 shown]
	s_waitcnt lgkmcnt(1)
	;;#ASMSTART
	
             v_fmac_f32 v116, v13, v160 
             
	;;#ASMEND
	;;#ASMSTART
	
             v_fmac_f32 v117, v13, v161 
             
	;;#ASMEND
	;; [unrolled: 5-line block ×16, first 2 shown]
	s_waitcnt lgkmcnt(0)
	;;#ASMSTART
	
             v_fmac_f32 v18, v178, v148 
             
	;;#ASMEND
	;;#ASMSTART
	
             v_fmac_f32 v19, v178, v149 
             
	;;#ASMEND
	;; [unrolled: 5-line block ×32, first 2 shown]
	ds_store_b128 v167, v[132:135] offset:8192
	ds_store_b128 v167, v[0:3] offset:24576
	;; [unrolled: 1-line block ×3, first 2 shown]
	s_waitcnt vmcnt(0)
	ds_store_b128 v177, v[6:9] offset:512
	s_waitcnt lgkmcnt(0)
	s_barrier
	ds_load_b128 v[0:3], v165 offset:8192
	ds_load_b128 v[6:9], v166 offset:24576
	ds_load_b128 v[13:16], v166 offset:24832
	ds_load_b128 v[132:135], v165 offset:8448
	s_waitcnt lgkmcnt(2)
	;;#ASMSTART
	
             v_fmac_f32 v128, v0, v6 
             
	;;#ASMEND
	;;#ASMSTART
	
             v_fmac_f32 v129, v0, v7 
             
	;;#ASMEND
	;; [unrolled: 5-line block ×16, first 2 shown]
	s_waitcnt lgkmcnt(1)
	;;#ASMSTART
	
             v_fmac_f32 v116, v0, v13 
             
	;;#ASMEND
	;;#ASMSTART
	
             v_fmac_f32 v117, v0, v14 
             
	;;#ASMEND
	;; [unrolled: 5-line block ×16, first 2 shown]
	ds_load_b128 v[0:3], v165 offset:8704
	s_waitcnt lgkmcnt(1)
	;;#ASMSTART
	
             v_fmac_f32 v18, v132, v6 
             
	;;#ASMEND
	;;#ASMSTART
	
             v_fmac_f32 v19, v132, v7 
             
	;;#ASMEND
	;; [unrolled: 5-line block ×16, first 2 shown]
	ds_load_b128 v[6:9], v166 offset:25088
	;;#ASMSTART
	
             v_fmac_f32 v22, v132, v13 
             
	;;#ASMEND
	;;#ASMSTART
	
             v_fmac_f32 v23, v132, v14 
             
	;;#ASMEND
	;; [unrolled: 5-line block ×16, first 2 shown]
	ds_load_b128 v[13:16], v166 offset:25344
	ds_load_b128 v[132:135], v165 offset:8960
	s_waitcnt lgkmcnt(2)
	;;#ASMSTART
	
             v_fmac_f32 v128, v0, v6 
             
	;;#ASMEND
	;;#ASMSTART
	
             v_fmac_f32 v129, v0, v7 
             
	;;#ASMEND
	;; [unrolled: 5-line block ×16, first 2 shown]
	s_waitcnt lgkmcnt(1)
	;;#ASMSTART
	
             v_fmac_f32 v116, v0, v13 
             
	;;#ASMEND
	;;#ASMSTART
	
             v_fmac_f32 v117, v0, v14 
             
	;;#ASMEND
	;;#ASMSTART
	
             v_fmac_f32 v118, v0, v15 
             
	;;#ASMEND
	;;#ASMSTART
	
             v_fmac_f32 v119, v0, v16 
             
	;;#ASMEND
	;;#ASMSTART
	
             v_fmac_f32 v112, v1, v13 
             
	;;#ASMEND
	;;#ASMSTART
	
             v_fmac_f32 v113, v1, v14 
             
	;;#ASMEND
	;;#ASMSTART
	
             v_fmac_f32 v114, v1, v15 
             
	;;#ASMEND
	;;#ASMSTART
	
             v_fmac_f32 v115, v1, v16 
             
	;;#ASMEND
	;;#ASMSTART
	
             v_fmac_f32 v84, v2, v13 
             
	;;#ASMEND
	;;#ASMSTART
	
             v_fmac_f32 v85, v2, v14 
             
	;;#ASMEND
	;;#ASMSTART
	
             v_fmac_f32 v86, v2, v15 
             
	;;#ASMEND
	;;#ASMSTART
	
             v_fmac_f32 v87, v2, v16 
             
	;;#ASMEND
	;;#ASMSTART
	
             v_fmac_f32 v80, v3, v13 
             
	;;#ASMEND
	;;#ASMSTART
	
             v_fmac_f32 v81, v3, v14 
             
	;;#ASMEND
	;;#ASMSTART
	
             v_fmac_f32 v82, v3, v15 
             
	;;#ASMEND
	;;#ASMSTART
	
             v_fmac_f32 v83, v3, v16 
             
	;;#ASMEND
	ds_load_b128 v[0:3], v165 offset:9216
	s_waitcnt lgkmcnt(1)
	;;#ASMSTART
	
             v_fmac_f32 v18, v132, v6 
             
	;;#ASMEND
	;;#ASMSTART
	
             v_fmac_f32 v19, v132, v7 
             
	;;#ASMEND
	;; [unrolled: 5-line block ×16, first 2 shown]
	ds_load_b128 v[6:9], v166 offset:25600
	;;#ASMSTART
	
             v_fmac_f32 v22, v132, v13 
             
	;;#ASMEND
	;;#ASMSTART
	
             v_fmac_f32 v23, v132, v14 
             
	;;#ASMEND
	;; [unrolled: 5-line block ×16, first 2 shown]
	ds_load_b128 v[13:16], v166 offset:25856
	ds_load_b128 v[132:135], v165 offset:9472
	s_waitcnt lgkmcnt(2)
	;;#ASMSTART
	
             v_fmac_f32 v128, v0, v6 
             
	;;#ASMEND
	;;#ASMSTART
	
             v_fmac_f32 v129, v0, v7 
             
	;;#ASMEND
	;; [unrolled: 5-line block ×16, first 2 shown]
	s_waitcnt lgkmcnt(1)
	;;#ASMSTART
	
             v_fmac_f32 v116, v0, v13 
             
	;;#ASMEND
	;;#ASMSTART
	
             v_fmac_f32 v117, v0, v14 
             
	;;#ASMEND
	;; [unrolled: 5-line block ×16, first 2 shown]
	ds_load_b128 v[0:3], v165 offset:9728
	s_waitcnt lgkmcnt(1)
	;;#ASMSTART
	
             v_fmac_f32 v18, v132, v6 
             
	;;#ASMEND
	;;#ASMSTART
	
             v_fmac_f32 v19, v132, v7 
             
	;;#ASMEND
	;; [unrolled: 5-line block ×16, first 2 shown]
	ds_load_b128 v[6:9], v166 offset:26112
	;;#ASMSTART
	
             v_fmac_f32 v22, v132, v13 
             
	;;#ASMEND
	;;#ASMSTART
	
             v_fmac_f32 v23, v132, v14 
             
	;;#ASMEND
	;; [unrolled: 5-line block ×16, first 2 shown]
	ds_load_b128 v[13:16], v166 offset:26368
	ds_load_b128 v[132:135], v165 offset:9984
	s_waitcnt lgkmcnt(2)
	;;#ASMSTART
	
             v_fmac_f32 v128, v0, v6 
             
	;;#ASMEND
	;;#ASMSTART
	
             v_fmac_f32 v129, v0, v7 
             
	;;#ASMEND
	;; [unrolled: 5-line block ×16, first 2 shown]
	s_waitcnt lgkmcnt(1)
	;;#ASMSTART
	
             v_fmac_f32 v116, v0, v13 
             
	;;#ASMEND
	;;#ASMSTART
	
             v_fmac_f32 v117, v0, v14 
             
	;;#ASMEND
	;; [unrolled: 5-line block ×16, first 2 shown]
	ds_load_b128 v[0:3], v165 offset:10240
	s_waitcnt lgkmcnt(1)
	;;#ASMSTART
	
             v_fmac_f32 v18, v132, v6 
             
	;;#ASMEND
	;;#ASMSTART
	
             v_fmac_f32 v19, v132, v7 
             
	;;#ASMEND
	;; [unrolled: 5-line block ×16, first 2 shown]
	ds_load_b128 v[6:9], v166 offset:26624
	;;#ASMSTART
	
             v_fmac_f32 v22, v132, v13 
             
	;;#ASMEND
	;;#ASMSTART
	
             v_fmac_f32 v23, v132, v14 
             
	;;#ASMEND
	;; [unrolled: 5-line block ×16, first 2 shown]
	ds_load_b128 v[13:16], v166 offset:26880
	ds_load_b128 v[132:135], v165 offset:10496
	s_waitcnt lgkmcnt(2)
	;;#ASMSTART
	
             v_fmac_f32 v128, v0, v6 
             
	;;#ASMEND
	;;#ASMSTART
	
             v_fmac_f32 v129, v0, v7 
             
	;;#ASMEND
	;; [unrolled: 5-line block ×16, first 2 shown]
	s_waitcnt lgkmcnt(1)
	;;#ASMSTART
	
             v_fmac_f32 v116, v0, v13 
             
	;;#ASMEND
	;;#ASMSTART
	
             v_fmac_f32 v117, v0, v14 
             
	;;#ASMEND
	;; [unrolled: 5-line block ×16, first 2 shown]
	ds_load_b128 v[0:3], v165 offset:10752
	s_waitcnt lgkmcnt(1)
	;;#ASMSTART
	
             v_fmac_f32 v18, v132, v6 
             
	;;#ASMEND
	;;#ASMSTART
	
             v_fmac_f32 v19, v132, v7 
             
	;;#ASMEND
	;; [unrolled: 5-line block ×16, first 2 shown]
	ds_load_b128 v[6:9], v166 offset:27136
	;;#ASMSTART
	
             v_fmac_f32 v22, v132, v13 
             
	;;#ASMEND
	;;#ASMSTART
	
             v_fmac_f32 v23, v132, v14 
             
	;;#ASMEND
	;; [unrolled: 5-line block ×16, first 2 shown]
	ds_load_b128 v[13:16], v166 offset:27392
	ds_load_b128 v[132:135], v165 offset:11008
	s_waitcnt lgkmcnt(2)
	;;#ASMSTART
	
             v_fmac_f32 v128, v0, v6 
             
	;;#ASMEND
	;;#ASMSTART
	
             v_fmac_f32 v129, v0, v7 
             
	;;#ASMEND
	;; [unrolled: 5-line block ×16, first 2 shown]
	s_waitcnt lgkmcnt(1)
	;;#ASMSTART
	
             v_fmac_f32 v116, v0, v13 
             
	;;#ASMEND
	;;#ASMSTART
	
             v_fmac_f32 v117, v0, v14 
             
	;;#ASMEND
	;; [unrolled: 5-line block ×16, first 2 shown]
	ds_load_b128 v[0:3], v165 offset:11264
	s_waitcnt lgkmcnt(1)
	;;#ASMSTART
	
             v_fmac_f32 v18, v132, v6 
             
	;;#ASMEND
	;;#ASMSTART
	
             v_fmac_f32 v19, v132, v7 
             
	;;#ASMEND
	;; [unrolled: 5-line block ×16, first 2 shown]
	ds_load_b128 v[6:9], v166 offset:27648
	;;#ASMSTART
	
             v_fmac_f32 v22, v132, v13 
             
	;;#ASMEND
	;;#ASMSTART
	
             v_fmac_f32 v23, v132, v14 
             
	;;#ASMEND
	;; [unrolled: 5-line block ×16, first 2 shown]
	ds_load_b128 v[13:16], v166 offset:27904
	ds_load_b128 v[132:135], v165 offset:11520
	s_waitcnt lgkmcnt(2)
	;;#ASMSTART
	
             v_fmac_f32 v128, v0, v6 
             
	;;#ASMEND
	;;#ASMSTART
	
             v_fmac_f32 v129, v0, v7 
             
	;;#ASMEND
	;; [unrolled: 5-line block ×16, first 2 shown]
	s_waitcnt lgkmcnt(1)
	;;#ASMSTART
	
             v_fmac_f32 v116, v0, v13 
             
	;;#ASMEND
	;;#ASMSTART
	
             v_fmac_f32 v117, v0, v14 
             
	;;#ASMEND
	;;#ASMSTART
	
             v_fmac_f32 v118, v0, v15 
             
	;;#ASMEND
	;;#ASMSTART
	
             v_fmac_f32 v119, v0, v16 
             
	;;#ASMEND
	;;#ASMSTART
	
             v_fmac_f32 v112, v1, v13 
             
	;;#ASMEND
	;;#ASMSTART
	
             v_fmac_f32 v113, v1, v14 
             
	;;#ASMEND
	;;#ASMSTART
	
             v_fmac_f32 v114, v1, v15 
             
	;;#ASMEND
	;;#ASMSTART
	
             v_fmac_f32 v115, v1, v16 
             
	;;#ASMEND
	;;#ASMSTART
	
             v_fmac_f32 v84, v2, v13 
             
	;;#ASMEND
	;;#ASMSTART
	
             v_fmac_f32 v85, v2, v14 
             
	;;#ASMEND
	;;#ASMSTART
	
             v_fmac_f32 v86, v2, v15 
             
	;;#ASMEND
	;;#ASMSTART
	
             v_fmac_f32 v87, v2, v16 
             
	;;#ASMEND
	;;#ASMSTART
	
             v_fmac_f32 v80, v3, v13 
             
	;;#ASMEND
	;;#ASMSTART
	
             v_fmac_f32 v81, v3, v14 
             
	;;#ASMEND
	;;#ASMSTART
	
             v_fmac_f32 v82, v3, v15 
             
	;;#ASMEND
	;;#ASMSTART
	
             v_fmac_f32 v83, v3, v16 
             
	;;#ASMEND
	ds_load_b128 v[0:3], v165 offset:11776
	s_waitcnt lgkmcnt(1)
	;;#ASMSTART
	
             v_fmac_f32 v18, v132, v6 
             
	;;#ASMEND
	;;#ASMSTART
	
             v_fmac_f32 v19, v132, v7 
             
	;;#ASMEND
	;; [unrolled: 5-line block ×16, first 2 shown]
	ds_load_b128 v[6:9], v166 offset:28160
	;;#ASMSTART
	
             v_fmac_f32 v22, v132, v13 
             
	;;#ASMEND
	;;#ASMSTART
	
             v_fmac_f32 v23, v132, v14 
             
	;;#ASMEND
	;; [unrolled: 5-line block ×16, first 2 shown]
	ds_load_b128 v[13:16], v166 offset:28416
	ds_load_b128 v[132:135], v165 offset:12032
	s_waitcnt lgkmcnt(2)
	;;#ASMSTART
	
             v_fmac_f32 v128, v0, v6 
             
	;;#ASMEND
	;;#ASMSTART
	
             v_fmac_f32 v129, v0, v7 
             
	;;#ASMEND
	;; [unrolled: 5-line block ×16, first 2 shown]
	s_waitcnt lgkmcnt(1)
	;;#ASMSTART
	
             v_fmac_f32 v116, v0, v13 
             
	;;#ASMEND
	;;#ASMSTART
	
             v_fmac_f32 v117, v0, v14 
             
	;;#ASMEND
	;; [unrolled: 5-line block ×16, first 2 shown]
	ds_load_b128 v[0:3], v165 offset:12288
	s_waitcnt lgkmcnt(1)
	;;#ASMSTART
	
             v_fmac_f32 v18, v132, v6 
             
	;;#ASMEND
	;;#ASMSTART
	
             v_fmac_f32 v19, v132, v7 
             
	;;#ASMEND
	;; [unrolled: 5-line block ×16, first 2 shown]
	ds_load_b128 v[6:9], v166 offset:28672
	;;#ASMSTART
	
             v_fmac_f32 v22, v132, v13 
             
	;;#ASMEND
	;;#ASMSTART
	
             v_fmac_f32 v23, v132, v14 
             
	;;#ASMEND
	;; [unrolled: 5-line block ×16, first 2 shown]
	ds_load_b128 v[13:16], v166 offset:28928
	ds_load_b128 v[132:135], v165 offset:12544
	s_waitcnt lgkmcnt(2)
	;;#ASMSTART
	
             v_fmac_f32 v128, v0, v6 
             
	;;#ASMEND
	;;#ASMSTART
	
             v_fmac_f32 v129, v0, v7 
             
	;;#ASMEND
	;; [unrolled: 5-line block ×16, first 2 shown]
	s_waitcnt lgkmcnt(1)
	;;#ASMSTART
	
             v_fmac_f32 v116, v0, v13 
             
	;;#ASMEND
	;;#ASMSTART
	
             v_fmac_f32 v117, v0, v14 
             
	;;#ASMEND
	;; [unrolled: 5-line block ×16, first 2 shown]
	ds_load_b128 v[0:3], v165 offset:12800
	s_waitcnt lgkmcnt(1)
	;;#ASMSTART
	
             v_fmac_f32 v18, v132, v6 
             
	;;#ASMEND
	;;#ASMSTART
	
             v_fmac_f32 v19, v132, v7 
             
	;;#ASMEND
	;; [unrolled: 5-line block ×16, first 2 shown]
	ds_load_b128 v[6:9], v166 offset:29184
	;;#ASMSTART
	
             v_fmac_f32 v22, v132, v13 
             
	;;#ASMEND
	;;#ASMSTART
	
             v_fmac_f32 v23, v132, v14 
             
	;;#ASMEND
	;; [unrolled: 5-line block ×16, first 2 shown]
	ds_load_b128 v[13:16], v166 offset:29440
	ds_load_b128 v[132:135], v165 offset:13056
	s_waitcnt lgkmcnt(2)
	;;#ASMSTART
	
             v_fmac_f32 v128, v0, v6 
             
	;;#ASMEND
	;;#ASMSTART
	
             v_fmac_f32 v129, v0, v7 
             
	;;#ASMEND
	;; [unrolled: 5-line block ×16, first 2 shown]
	s_waitcnt lgkmcnt(1)
	;;#ASMSTART
	
             v_fmac_f32 v116, v0, v13 
             
	;;#ASMEND
	;;#ASMSTART
	
             v_fmac_f32 v117, v0, v14 
             
	;;#ASMEND
	;; [unrolled: 5-line block ×16, first 2 shown]
	ds_load_b128 v[0:3], v165 offset:13312
	s_waitcnt lgkmcnt(1)
	;;#ASMSTART
	
             v_fmac_f32 v18, v132, v6 
             
	;;#ASMEND
	;;#ASMSTART
	
             v_fmac_f32 v19, v132, v7 
             
	;;#ASMEND
	;; [unrolled: 5-line block ×16, first 2 shown]
	ds_load_b128 v[6:9], v166 offset:29696
	;;#ASMSTART
	
             v_fmac_f32 v22, v132, v13 
             
	;;#ASMEND
	;;#ASMSTART
	
             v_fmac_f32 v23, v132, v14 
             
	;;#ASMEND
	;; [unrolled: 5-line block ×16, first 2 shown]
	ds_load_b128 v[13:16], v166 offset:29952
	ds_load_b128 v[132:135], v165 offset:13568
	s_waitcnt lgkmcnt(2)
	;;#ASMSTART
	
             v_fmac_f32 v128, v0, v6 
             
	;;#ASMEND
	;;#ASMSTART
	
             v_fmac_f32 v129, v0, v7 
             
	;;#ASMEND
	;; [unrolled: 5-line block ×16, first 2 shown]
	s_waitcnt lgkmcnt(1)
	;;#ASMSTART
	
             v_fmac_f32 v116, v0, v13 
             
	;;#ASMEND
	;;#ASMSTART
	
             v_fmac_f32 v117, v0, v14 
             
	;;#ASMEND
	;; [unrolled: 5-line block ×16, first 2 shown]
	ds_load_b128 v[0:3], v165 offset:13824
	s_waitcnt lgkmcnt(1)
	;;#ASMSTART
	
             v_fmac_f32 v18, v132, v6 
             
	;;#ASMEND
	;;#ASMSTART
	
             v_fmac_f32 v19, v132, v7 
             
	;;#ASMEND
	;; [unrolled: 5-line block ×16, first 2 shown]
	ds_load_b128 v[6:9], v166 offset:30208
	;;#ASMSTART
	
             v_fmac_f32 v22, v132, v13 
             
	;;#ASMEND
	;;#ASMSTART
	
             v_fmac_f32 v23, v132, v14 
             
	;;#ASMEND
	;; [unrolled: 5-line block ×16, first 2 shown]
	ds_load_b128 v[13:16], v166 offset:30464
	ds_load_b128 v[132:135], v165 offset:14080
	s_waitcnt lgkmcnt(2)
	;;#ASMSTART
	
             v_fmac_f32 v128, v0, v6 
             
	;;#ASMEND
	;;#ASMSTART
	
             v_fmac_f32 v129, v0, v7 
             
	;;#ASMEND
	;; [unrolled: 5-line block ×16, first 2 shown]
	s_waitcnt lgkmcnt(1)
	;;#ASMSTART
	
             v_fmac_f32 v116, v0, v13 
             
	;;#ASMEND
	;;#ASMSTART
	
             v_fmac_f32 v117, v0, v14 
             
	;;#ASMEND
	;; [unrolled: 5-line block ×16, first 2 shown]
	ds_load_b128 v[0:3], v165 offset:14336
	s_waitcnt lgkmcnt(1)
	;;#ASMSTART
	
             v_fmac_f32 v18, v132, v6 
             
	;;#ASMEND
	;;#ASMSTART
	
             v_fmac_f32 v19, v132, v7 
             
	;;#ASMEND
	;; [unrolled: 5-line block ×16, first 2 shown]
	ds_load_b128 v[6:9], v166 offset:30720
	;;#ASMSTART
	
             v_fmac_f32 v22, v132, v13 
             
	;;#ASMEND
	;;#ASMSTART
	
             v_fmac_f32 v23, v132, v14 
             
	;;#ASMEND
	;; [unrolled: 5-line block ×16, first 2 shown]
	ds_load_b128 v[13:16], v166 offset:30976
	ds_load_b128 v[132:135], v165 offset:14592
	s_waitcnt lgkmcnt(2)
	;;#ASMSTART
	
             v_fmac_f32 v128, v0, v6 
             
	;;#ASMEND
	;;#ASMSTART
	
             v_fmac_f32 v129, v0, v7 
             
	;;#ASMEND
	;; [unrolled: 5-line block ×16, first 2 shown]
	s_waitcnt lgkmcnt(1)
	;;#ASMSTART
	
             v_fmac_f32 v116, v0, v13 
             
	;;#ASMEND
	;;#ASMSTART
	
             v_fmac_f32 v117, v0, v14 
             
	;;#ASMEND
	;; [unrolled: 5-line block ×16, first 2 shown]
	ds_load_b128 v[0:3], v165 offset:14848
	s_waitcnt lgkmcnt(1)
	;;#ASMSTART
	
             v_fmac_f32 v18, v132, v6 
             
	;;#ASMEND
	;;#ASMSTART
	
             v_fmac_f32 v19, v132, v7 
             
	;;#ASMEND
	;; [unrolled: 5-line block ×16, first 2 shown]
	ds_load_b128 v[6:9], v166 offset:31232
	;;#ASMSTART
	
             v_fmac_f32 v22, v132, v13 
             
	;;#ASMEND
	;;#ASMSTART
	
             v_fmac_f32 v23, v132, v14 
             
	;;#ASMEND
	;; [unrolled: 5-line block ×16, first 2 shown]
	ds_load_b128 v[13:16], v166 offset:31488
	ds_load_b128 v[132:135], v165 offset:15104
	s_waitcnt lgkmcnt(2)
	;;#ASMSTART
	
             v_fmac_f32 v128, v0, v6 
             
	;;#ASMEND
	;;#ASMSTART
	
             v_fmac_f32 v129, v0, v7 
             
	;;#ASMEND
	;; [unrolled: 5-line block ×16, first 2 shown]
	s_waitcnt lgkmcnt(1)
	;;#ASMSTART
	
             v_fmac_f32 v116, v0, v13 
             
	;;#ASMEND
	;;#ASMSTART
	
             v_fmac_f32 v117, v0, v14 
             
	;;#ASMEND
	;;#ASMSTART
	
             v_fmac_f32 v118, v0, v15 
             
	;;#ASMEND
	;;#ASMSTART
	
             v_fmac_f32 v119, v0, v16 
             
	;;#ASMEND
	;;#ASMSTART
	
             v_fmac_f32 v112, v1, v13 
             
	;;#ASMEND
	;;#ASMSTART
	
             v_fmac_f32 v113, v1, v14 
             
	;;#ASMEND
	;;#ASMSTART
	
             v_fmac_f32 v114, v1, v15 
             
	;;#ASMEND
	;;#ASMSTART
	
             v_fmac_f32 v115, v1, v16 
             
	;;#ASMEND
	;;#ASMSTART
	
             v_fmac_f32 v84, v2, v13 
             
	;;#ASMEND
	;;#ASMSTART
	
             v_fmac_f32 v85, v2, v14 
             
	;;#ASMEND
	;;#ASMSTART
	
             v_fmac_f32 v86, v2, v15 
             
	;;#ASMEND
	;;#ASMSTART
	
             v_fmac_f32 v87, v2, v16 
             
	;;#ASMEND
	;;#ASMSTART
	
             v_fmac_f32 v80, v3, v13 
             
	;;#ASMEND
	;;#ASMSTART
	
             v_fmac_f32 v81, v3, v14 
             
	;;#ASMEND
	;;#ASMSTART
	
             v_fmac_f32 v82, v3, v15 
             
	;;#ASMEND
	;;#ASMSTART
	
             v_fmac_f32 v83, v3, v16 
             
	;;#ASMEND
	ds_load_b128 v[0:3], v165 offset:15360
	s_waitcnt lgkmcnt(1)
	;;#ASMSTART
	
             v_fmac_f32 v18, v132, v6 
             
	;;#ASMEND
	;;#ASMSTART
	
             v_fmac_f32 v19, v132, v7 
             
	;;#ASMEND
	;; [unrolled: 5-line block ×16, first 2 shown]
	ds_load_b128 v[6:9], v166 offset:31744
	;;#ASMSTART
	
             v_fmac_f32 v22, v132, v13 
             
	;;#ASMEND
	;;#ASMSTART
	
             v_fmac_f32 v23, v132, v14 
             
	;;#ASMEND
	;; [unrolled: 5-line block ×16, first 2 shown]
	ds_load_b128 v[13:16], v166 offset:32000
	ds_load_b128 v[132:135], v165 offset:15616
	s_waitcnt lgkmcnt(2)
	;;#ASMSTART
	
             v_fmac_f32 v128, v0, v6 
             
	;;#ASMEND
	;;#ASMSTART
	
             v_fmac_f32 v129, v0, v7 
             
	;;#ASMEND
	;; [unrolled: 5-line block ×16, first 2 shown]
	s_waitcnt lgkmcnt(1)
	;;#ASMSTART
	
             v_fmac_f32 v116, v0, v13 
             
	;;#ASMEND
	;;#ASMSTART
	
             v_fmac_f32 v117, v0, v14 
             
	;;#ASMEND
	;; [unrolled: 5-line block ×16, first 2 shown]
	ds_load_b128 v[0:3], v165 offset:15872
	s_waitcnt lgkmcnt(1)
	;;#ASMSTART
	
             v_fmac_f32 v18, v132, v6 
             
	;;#ASMEND
	;;#ASMSTART
	
             v_fmac_f32 v19, v132, v7 
             
	;;#ASMEND
	;; [unrolled: 5-line block ×16, first 2 shown]
	ds_load_b128 v[6:9], v166 offset:32256
	;;#ASMSTART
	
             v_fmac_f32 v22, v132, v13 
             
	;;#ASMEND
	;;#ASMSTART
	
             v_fmac_f32 v23, v132, v14 
             
	;;#ASMEND
	;; [unrolled: 5-line block ×16, first 2 shown]
	ds_load_b128 v[13:16], v166 offset:32512
	ds_load_b128 v[132:135], v165 offset:16128
	s_waitcnt lgkmcnt(2)
	;;#ASMSTART
	
             v_fmac_f32 v128, v0, v6 
             
	;;#ASMEND
	;;#ASMSTART
	
             v_fmac_f32 v129, v0, v7 
             
	;;#ASMEND
	;; [unrolled: 5-line block ×16, first 2 shown]
	s_waitcnt lgkmcnt(1)
	;;#ASMSTART
	
             v_fmac_f32 v116, v0, v13 
             
	;;#ASMEND
	;;#ASMSTART
	
             v_fmac_f32 v117, v0, v14 
             
	;;#ASMEND
	;; [unrolled: 5-line block ×16, first 2 shown]
	s_waitcnt lgkmcnt(0)
	;;#ASMSTART
	
             v_fmac_f32 v18, v132, v6 
             
	;;#ASMEND
	;;#ASMSTART
	
             v_fmac_f32 v19, v132, v7 
             
	;;#ASMEND
	;; [unrolled: 5-line block ×32, first 2 shown]
	flat_load_b32 v0, v[10:11] offset:8
	v_add_nc_u32_e32 v1, s1, v164
	v_dual_mov_b32 v7, 0x31004000 :: v_dual_lshlrev_b32 v6, 2, v12
	s_mov_b32 s1, exec_lo
	s_waitcnt vmcnt(0) lgkmcnt(0)
	s_delay_alu instid0(VALU_DEP_2) | instskip(NEXT) | instid1(VALU_DEP_1)
	v_mul_lo_u32 v0, v0, v1
	v_add3_u32 v0, v39, s2, v0
	s_delay_alu instid0(VALU_DEP_1)
	v_lshlrev_b32_e32 v1, 2, v0
.LBB1_35:                               ; =>This Inner Loop Header: Depth=1
	v_readfirstlane_b32 s4, v4
	v_readfirstlane_b32 s5, v5
	;; [unrolled: 1-line block ×4, first 2 shown]
	s_delay_alu instid0(VALU_DEP_3) | instskip(NEXT) | instid1(VALU_DEP_2)
	v_cmp_eq_u64_e32 vcc_lo, s[4:5], v[4:5]
	v_cmp_eq_u64_e64 s0, s[6:7], v[6:7]
	s_delay_alu instid0(VALU_DEP_1) | instskip(NEXT) | instid1(SALU_CYCLE_1)
	s_and_b32 s0, vcc_lo, s0
	s_and_saveexec_b32 s0, s0
	buffer_store_b128 v[128:131], v1, s[4:7], 0 offen
                                        ; implicit-def: $vgpr128_vgpr129_vgpr130_vgpr131
                                        ; implicit-def: $vgpr1
	s_xor_b32 exec_lo, exec_lo, s0
	s_cbranch_execnz .LBB1_35
; %bb.36:
	s_mov_b32 exec_lo, s1
	v_add_nc_u32_e32 v1, 64, v0
	s_mov_b32 s1, exec_lo
	s_delay_alu instid0(VALU_DEP_1)
	v_lshlrev_b32_e32 v2, 2, v1
.LBB1_37:                               ; =>This Inner Loop Header: Depth=1
	v_readfirstlane_b32 s4, v4
	v_readfirstlane_b32 s5, v5
	;; [unrolled: 1-line block ×4, first 2 shown]
	s_delay_alu instid0(VALU_DEP_3) | instskip(NEXT) | instid1(VALU_DEP_2)
	v_cmp_eq_u64_e32 vcc_lo, s[4:5], v[4:5]
	v_cmp_eq_u64_e64 s0, s[6:7], v[6:7]
	s_delay_alu instid0(VALU_DEP_1) | instskip(NEXT) | instid1(SALU_CYCLE_1)
	s_and_b32 s0, vcc_lo, s0
	s_and_saveexec_b32 s0, s0
	buffer_store_b128 v[116:119], v2, s[4:7], 0 offen
                                        ; implicit-def: $vgpr116_vgpr117_vgpr118_vgpr119
                                        ; implicit-def: $vgpr2
	s_xor_b32 exec_lo, exec_lo, s0
	s_cbranch_execnz .LBB1_37
; %bb.38:
	s_mov_b32 exec_lo, s1
	flat_load_b32 v2, v[10:11] offset:8
	s_mov_b32 s1, exec_lo
	s_waitcnt vmcnt(0) lgkmcnt(0)
	v_add_lshl_u32 v1, v2, v1, 2
.LBB1_39:                               ; =>This Inner Loop Header: Depth=1
	v_readfirstlane_b32 s4, v4
	v_readfirstlane_b32 s5, v5
	v_readfirstlane_b32 s6, v6
	v_readfirstlane_b32 s7, v7
	s_delay_alu instid0(VALU_DEP_3) | instskip(NEXT) | instid1(VALU_DEP_2)
	v_cmp_eq_u64_e32 vcc_lo, s[4:5], v[4:5]
	v_cmp_eq_u64_e64 s0, s[6:7], v[6:7]
	s_delay_alu instid0(VALU_DEP_1) | instskip(NEXT) | instid1(SALU_CYCLE_1)
	s_and_b32 s0, vcc_lo, s0
	s_and_saveexec_b32 s0, s0
	buffer_store_b128 v[112:115], v1, s[4:7], 0 offen
                                        ; implicit-def: $vgpr112_vgpr113_vgpr114_vgpr115
                                        ; implicit-def: $vgpr1
	s_xor_b32 exec_lo, exec_lo, s0
	s_cbranch_execnz .LBB1_39
; %bb.40:
	s_mov_b32 exec_lo, s1
	v_add_nc_u32_e32 v0, v2, v0
	s_mov_b32 s1, exec_lo
	s_delay_alu instid0(VALU_DEP_1)
	v_lshlrev_b32_e32 v1, 2, v0
.LBB1_41:                               ; =>This Inner Loop Header: Depth=1
	v_readfirstlane_b32 s4, v4
	v_readfirstlane_b32 s5, v5
	;; [unrolled: 1-line block ×4, first 2 shown]
	s_delay_alu instid0(VALU_DEP_3) | instskip(NEXT) | instid1(VALU_DEP_2)
	v_cmp_eq_u64_e32 vcc_lo, s[4:5], v[4:5]
	v_cmp_eq_u64_e64 s0, s[6:7], v[6:7]
	s_delay_alu instid0(VALU_DEP_1) | instskip(NEXT) | instid1(SALU_CYCLE_1)
	s_and_b32 s0, vcc_lo, s0
	s_and_saveexec_b32 s0, s0
	buffer_store_b128 v[100:103], v1, s[4:7], 0 offen
                                        ; implicit-def: $vgpr100_vgpr101_vgpr102_vgpr103
                                        ; implicit-def: $vgpr1
	s_xor_b32 exec_lo, exec_lo, s0
	s_cbranch_execnz .LBB1_41
; %bb.42:
	s_mov_b32 exec_lo, s1
	flat_load_b32 v1, v[10:11] offset:8
	s_mov_b32 s1, exec_lo
	s_waitcnt vmcnt(0) lgkmcnt(0)
	v_add_nc_u32_e32 v0, v1, v0
	s_delay_alu instid0(VALU_DEP_1)
	v_lshlrev_b32_e32 v1, 2, v0
.LBB1_43:                               ; =>This Inner Loop Header: Depth=1
	v_readfirstlane_b32 s4, v4
	v_readfirstlane_b32 s5, v5
	;; [unrolled: 1-line block ×4, first 2 shown]
	s_delay_alu instid0(VALU_DEP_3) | instskip(NEXT) | instid1(VALU_DEP_2)
	v_cmp_eq_u64_e32 vcc_lo, s[4:5], v[4:5]
	v_cmp_eq_u64_e64 s0, s[6:7], v[6:7]
	s_delay_alu instid0(VALU_DEP_1) | instskip(NEXT) | instid1(SALU_CYCLE_1)
	s_and_b32 s0, vcc_lo, s0
	s_and_saveexec_b32 s0, s0
	buffer_store_b128 v[96:99], v1, s[4:7], 0 offen
                                        ; implicit-def: $vgpr96_vgpr97_vgpr98_vgpr99
                                        ; implicit-def: $vgpr1
	s_xor_b32 exec_lo, exec_lo, s0
	s_cbranch_execnz .LBB1_43
; %bb.44:
	s_mov_b32 exec_lo, s1
	v_add_nc_u32_e32 v1, 64, v0
	s_mov_b32 s1, exec_lo
	s_delay_alu instid0(VALU_DEP_1)
	v_lshlrev_b32_e32 v2, 2, v1
.LBB1_45:                               ; =>This Inner Loop Header: Depth=1
	v_readfirstlane_b32 s4, v4
	v_readfirstlane_b32 s5, v5
	;; [unrolled: 1-line block ×4, first 2 shown]
	s_delay_alu instid0(VALU_DEP_3) | instskip(NEXT) | instid1(VALU_DEP_2)
	v_cmp_eq_u64_e32 vcc_lo, s[4:5], v[4:5]
	v_cmp_eq_u64_e64 s0, s[6:7], v[6:7]
	s_delay_alu instid0(VALU_DEP_1) | instskip(NEXT) | instid1(SALU_CYCLE_1)
	s_and_b32 s0, vcc_lo, s0
	s_and_saveexec_b32 s0, s0
	buffer_store_b128 v[84:87], v2, s[4:7], 0 offen
                                        ; implicit-def: $vgpr84_vgpr85_vgpr86_vgpr87
                                        ; implicit-def: $vgpr2
	s_xor_b32 exec_lo, exec_lo, s0
	s_cbranch_execnz .LBB1_45
; %bb.46:
	s_mov_b32 exec_lo, s1
	flat_load_b32 v2, v[10:11] offset:8
	s_mov_b32 s1, exec_lo
	s_waitcnt vmcnt(0) lgkmcnt(0)
	v_add_lshl_u32 v1, v2, v1, 2
.LBB1_47:                               ; =>This Inner Loop Header: Depth=1
	v_readfirstlane_b32 s4, v4
	v_readfirstlane_b32 s5, v5
	;; [unrolled: 1-line block ×4, first 2 shown]
	s_delay_alu instid0(VALU_DEP_3) | instskip(NEXT) | instid1(VALU_DEP_2)
	v_cmp_eq_u64_e32 vcc_lo, s[4:5], v[4:5]
	v_cmp_eq_u64_e64 s0, s[6:7], v[6:7]
	s_delay_alu instid0(VALU_DEP_1) | instskip(NEXT) | instid1(SALU_CYCLE_1)
	s_and_b32 s0, vcc_lo, s0
	s_and_saveexec_b32 s0, s0
	buffer_store_b128 v[80:83], v1, s[4:7], 0 offen
                                        ; implicit-def: $vgpr80_vgpr81_vgpr82_vgpr83
                                        ; implicit-def: $vgpr1
	s_xor_b32 exec_lo, exec_lo, s0
	s_cbranch_execnz .LBB1_47
; %bb.48:
	s_mov_b32 exec_lo, s1
	v_add_nc_u32_e32 v0, v2, v0
	s_mov_b32 s1, exec_lo
	s_delay_alu instid0(VALU_DEP_1)
	v_lshlrev_b32_e32 v1, 2, v0
.LBB1_49:                               ; =>This Inner Loop Header: Depth=1
	v_readfirstlane_b32 s4, v4
	v_readfirstlane_b32 s5, v5
	;; [unrolled: 1-line block ×4, first 2 shown]
	s_delay_alu instid0(VALU_DEP_3) | instskip(NEXT) | instid1(VALU_DEP_2)
	v_cmp_eq_u64_e32 vcc_lo, s[4:5], v[4:5]
	v_cmp_eq_u64_e64 s0, s[6:7], v[6:7]
	s_delay_alu instid0(VALU_DEP_1) | instskip(NEXT) | instid1(SALU_CYCLE_1)
	s_and_b32 s0, vcc_lo, s0
	s_and_saveexec_b32 s0, s0
	buffer_store_b128 v[68:71], v1, s[4:7], 0 offen
                                        ; implicit-def: $vgpr68_vgpr69_vgpr70_vgpr71
                                        ; implicit-def: $vgpr1
	s_xor_b32 exec_lo, exec_lo, s0
	s_cbranch_execnz .LBB1_49
; %bb.50:
	s_mov_b32 exec_lo, s1
	flat_load_b32 v1, v[10:11] offset:8
	s_mov_b32 s1, exec_lo
	s_waitcnt vmcnt(0) lgkmcnt(0)
	v_lshl_add_u32 v0, v1, 6, v0
	s_delay_alu instid0(VALU_DEP_1)
	v_lshlrev_b32_e32 v1, 2, v0
.LBB1_51:                               ; =>This Inner Loop Header: Depth=1
	v_readfirstlane_b32 s4, v4
	v_readfirstlane_b32 s5, v5
	v_readfirstlane_b32 s6, v6
	v_readfirstlane_b32 s7, v7
	s_delay_alu instid0(VALU_DEP_3) | instskip(NEXT) | instid1(VALU_DEP_2)
	v_cmp_eq_u64_e32 vcc_lo, s[4:5], v[4:5]
	v_cmp_eq_u64_e64 s0, s[6:7], v[6:7]
	s_delay_alu instid0(VALU_DEP_1) | instskip(NEXT) | instid1(SALU_CYCLE_1)
	s_and_b32 s0, vcc_lo, s0
	s_and_saveexec_b32 s0, s0
	buffer_store_b128 v[64:67], v1, s[4:7], 0 offen
                                        ; implicit-def: $vgpr64_vgpr65_vgpr66_vgpr67
                                        ; implicit-def: $vgpr1
	s_xor_b32 exec_lo, exec_lo, s0
	s_cbranch_execnz .LBB1_51
; %bb.52:
	s_mov_b32 exec_lo, s1
	v_add_nc_u32_e32 v0, 64, v0
	s_mov_b32 s1, exec_lo
	s_delay_alu instid0(VALU_DEP_1)
	v_lshlrev_b32_e32 v1, 2, v0
.LBB1_53:                               ; =>This Inner Loop Header: Depth=1
	v_readfirstlane_b32 s4, v4
	v_readfirstlane_b32 s5, v5
	;; [unrolled: 1-line block ×4, first 2 shown]
	s_delay_alu instid0(VALU_DEP_3) | instskip(NEXT) | instid1(VALU_DEP_2)
	v_cmp_eq_u64_e32 vcc_lo, s[4:5], v[4:5]
	v_cmp_eq_u64_e64 s0, s[6:7], v[6:7]
	s_delay_alu instid0(VALU_DEP_1) | instskip(NEXT) | instid1(SALU_CYCLE_1)
	s_and_b32 s0, vcc_lo, s0
	s_and_saveexec_b32 s0, s0
	buffer_store_b128 v[52:55], v1, s[4:7], 0 offen
                                        ; implicit-def: $vgpr52_vgpr53_vgpr54_vgpr55
                                        ; implicit-def: $vgpr1
	s_xor_b32 exec_lo, exec_lo, s0
	s_cbranch_execnz .LBB1_53
; %bb.54:
	s_mov_b32 exec_lo, s1
	flat_load_b32 v1, v[10:11] offset:8
	s_mov_b32 s1, exec_lo
	s_waitcnt vmcnt(0) lgkmcnt(0)
	v_sub_nc_u32_e32 v0, v0, v1
	s_delay_alu instid0(VALU_DEP_1)
	v_lshlrev_b32_e32 v1, 2, v0
.LBB1_55:                               ; =>This Inner Loop Header: Depth=1
	v_readfirstlane_b32 s4, v4
	v_readfirstlane_b32 s5, v5
	;; [unrolled: 1-line block ×4, first 2 shown]
	s_delay_alu instid0(VALU_DEP_3) | instskip(NEXT) | instid1(VALU_DEP_2)
	v_cmp_eq_u64_e32 vcc_lo, s[4:5], v[4:5]
	v_cmp_eq_u64_e64 s0, s[6:7], v[6:7]
	s_delay_alu instid0(VALU_DEP_1) | instskip(NEXT) | instid1(SALU_CYCLE_1)
	s_and_b32 s0, vcc_lo, s0
	s_and_saveexec_b32 s0, s0
	buffer_store_b128 v[48:51], v1, s[4:7], 0 offen
                                        ; implicit-def: $vgpr48_vgpr49_vgpr50_vgpr51
                                        ; implicit-def: $vgpr1
	s_xor_b32 exec_lo, exec_lo, s0
	s_cbranch_execnz .LBB1_55
; %bb.56:
	s_mov_b32 exec_lo, s1
	v_subrev_nc_u32_e32 v0, 64, v0
	s_mov_b32 s1, exec_lo
	s_delay_alu instid0(VALU_DEP_1)
	v_lshlrev_b32_e32 v1, 2, v0
.LBB1_57:                               ; =>This Inner Loop Header: Depth=1
	v_readfirstlane_b32 s4, v4
	v_readfirstlane_b32 s5, v5
	;; [unrolled: 1-line block ×4, first 2 shown]
	s_delay_alu instid0(VALU_DEP_3) | instskip(NEXT) | instid1(VALU_DEP_2)
	v_cmp_eq_u64_e32 vcc_lo, s[4:5], v[4:5]
	v_cmp_eq_u64_e64 s0, s[6:7], v[6:7]
	s_delay_alu instid0(VALU_DEP_1) | instskip(NEXT) | instid1(SALU_CYCLE_1)
	s_and_b32 s0, vcc_lo, s0
	s_and_saveexec_b32 s0, s0
	buffer_store_b128 v[34:37], v1, s[4:7], 0 offen
                                        ; implicit-def: $vgpr34_vgpr35_vgpr36_vgpr37
                                        ; implicit-def: $vgpr1
	s_xor_b32 exec_lo, exec_lo, s0
	s_cbranch_execnz .LBB1_57
; %bb.58:
	s_mov_b32 exec_lo, s1
	flat_load_b32 v1, v[10:11] offset:8
	s_mov_b32 s1, exec_lo
	s_waitcnt vmcnt(0) lgkmcnt(0)
	v_sub_nc_u32_e32 v0, v0, v1
	s_delay_alu instid0(VALU_DEP_1)
	v_lshlrev_b32_e32 v1, 2, v0
.LBB1_59:                               ; =>This Inner Loop Header: Depth=1
	v_readfirstlane_b32 s4, v4
	v_readfirstlane_b32 s5, v5
	;; [unrolled: 1-line block ×4, first 2 shown]
	s_delay_alu instid0(VALU_DEP_3) | instskip(NEXT) | instid1(VALU_DEP_2)
	v_cmp_eq_u64_e32 vcc_lo, s[4:5], v[4:5]
	v_cmp_eq_u64_e64 s0, s[6:7], v[6:7]
	s_delay_alu instid0(VALU_DEP_1) | instskip(NEXT) | instid1(SALU_CYCLE_1)
	s_and_b32 s0, vcc_lo, s0
	s_and_saveexec_b32 s0, s0
	buffer_store_b128 v[30:33], v1, s[4:7], 0 offen
                                        ; implicit-def: $vgpr30_vgpr31_vgpr32_vgpr33
                                        ; implicit-def: $vgpr1
	s_xor_b32 exec_lo, exec_lo, s0
	s_cbranch_execnz .LBB1_59
; %bb.60:
	s_mov_b32 exec_lo, s1
	v_add_nc_u32_e32 v0, 64, v0
	s_mov_b32 s1, exec_lo
	s_delay_alu instid0(VALU_DEP_1)
	v_lshlrev_b32_e32 v1, 2, v0
.LBB1_61:                               ; =>This Inner Loop Header: Depth=1
	v_readfirstlane_b32 s4, v4
	v_readfirstlane_b32 s5, v5
	;; [unrolled: 1-line block ×4, first 2 shown]
	s_delay_alu instid0(VALU_DEP_3) | instskip(NEXT) | instid1(VALU_DEP_2)
	v_cmp_eq_u64_e32 vcc_lo, s[4:5], v[4:5]
	v_cmp_eq_u64_e64 s0, s[6:7], v[6:7]
	s_delay_alu instid0(VALU_DEP_1) | instskip(NEXT) | instid1(SALU_CYCLE_1)
	s_and_b32 s0, vcc_lo, s0
	s_and_saveexec_b32 s0, s0
	buffer_store_b128 v[26:29], v1, s[4:7], 0 offen
                                        ; implicit-def: $vgpr26_vgpr27_vgpr28_vgpr29
                                        ; implicit-def: $vgpr1
	s_xor_b32 exec_lo, exec_lo, s0
	s_cbranch_execnz .LBB1_61
; %bb.62:
	s_mov_b32 exec_lo, s1
	flat_load_b32 v1, v[10:11] offset:8
	s_mov_b32 s1, exec_lo
	s_waitcnt vmcnt(0) lgkmcnt(0)
	v_sub_nc_u32_e32 v0, v0, v1
	s_delay_alu instid0(VALU_DEP_1)
	v_lshlrev_b32_e32 v0, 2, v0
.LBB1_63:                               ; =>This Inner Loop Header: Depth=1
	v_readfirstlane_b32 s4, v4
	v_readfirstlane_b32 s5, v5
	v_readfirstlane_b32 s6, v6
	v_readfirstlane_b32 s7, v7
	s_delay_alu instid0(VALU_DEP_3) | instskip(NEXT) | instid1(VALU_DEP_2)
	v_cmp_eq_u64_e32 vcc_lo, s[4:5], v[4:5]
	v_cmp_eq_u64_e64 s0, s[6:7], v[6:7]
	s_delay_alu instid0(VALU_DEP_1) | instskip(NEXT) | instid1(SALU_CYCLE_1)
	s_and_b32 s0, vcc_lo, s0
	s_and_saveexec_b32 s0, s0
	buffer_store_b128 v[22:25], v0, s[4:7], 0 offen
                                        ; implicit-def: $vgpr22_vgpr23_vgpr24_vgpr25
	s_xor_b32 exec_lo, exec_lo, s0
	s_cbranch_execnz .LBB1_63
; %bb.64:
	s_mov_b32 exec_lo, s1
	v_add_nc_u32_e32 v0, 0xffffff00, v0
	s_mov_b32 s1, exec_lo
.LBB1_65:                               ; =>This Inner Loop Header: Depth=1
	v_readfirstlane_b32 s4, v4
	v_readfirstlane_b32 s5, v5
	;; [unrolled: 1-line block ×4, first 2 shown]
	s_delay_alu instid0(VALU_DEP_3) | instskip(NEXT) | instid1(VALU_DEP_2)
	v_cmp_eq_u64_e32 vcc_lo, s[4:5], v[4:5]
	v_cmp_eq_u64_e64 s0, s[6:7], v[6:7]
	s_delay_alu instid0(VALU_DEP_1) | instskip(NEXT) | instid1(SALU_CYCLE_1)
	s_and_b32 s0, vcc_lo, s0
	s_and_saveexec_b32 s0, s0
	buffer_store_b128 v[18:21], v0, s[4:7], 0 offen
                                        ; implicit-def: $vgpr4_vgpr5_vgpr6_vgpr7
                                        ; implicit-def: $vgpr18_vgpr19_vgpr20_vgpr21
                                        ; implicit-def: $vgpr0
	s_xor_b32 exec_lo, exec_lo, s0
	s_cbranch_execnz .LBB1_65
; %bb.66:
	s_mov_b32 exec_lo, s1
	s_setpc_b64 s[30:31]
.Lfunc_end1:
	.size	_ZN2ck28GridwiseGemmDl_km_kn_mn_v1r3ILi256EfffLNS_25InMemoryDataOperationEnumE0ENS_16TensorDescriptorINS_5TupleIJNS_5EmbedINS3_IJiiEEENS3_IJNS_17integral_constantIiLi1EEEiEEELb0EEENS_7UnMergeINS3_IJiS7_EEELb0EEENS_11PassThroughIiEEEEENS3_IJNS_8SequenceIJLi0EEEENSG_IJLi2EEEENSG_IJLi1EEEEEEENS3_IJNSG_IJLi1ELi2EEEENSG_IJLi3ELi4EEEENSG_IJLi5EEEEEEENSG_IJLi3ELi5ELi4EEEElEENS2_INS3_IJNS4_IS5_SB_Lb0EEESC_SE_EEENS3_IJSH_SJ_SI_EEESO_SP_lEENS2_INS3_IJSR_SE_SE_EEEST_NS3_IJSL_NSG_IJLi3EEEENSG_IJLi4EEEEEEESM_lEELi128ELi128ELi16ELi1ELi4ELi4ELi1ENSG_IJLi8ELi2EEEES10_NSG_IJLi2ELi1ELi4ELi1EEEENSG_IJLi8ELi1ELi32ELi1EEEENSG_IJLi0ELi3ELi1ELi2EEEES13_NSG_IJLi1ELi1ELi4ELi1EEEES13_S14_S11_S12_S13_S13_S14_S13_S14_NSG_IJLi0ELi1ELi2ELi3ELi4ELi5EEEELi5ELi4EE3RunILb1ELb1EEEvPKfS19_PfS1A_RKNS2_INS3_IJS9_SC_SE_SE_NSA_INS3_IJiNS6_IiLi128EEEEEELb0EEENSD_IS7_EEEEENS3_IJSH_SI_SJ_SW_SN_SX_EEENS3_IJSL_SM_SN_NSG_IJLi6EEEENSG_IJLi7ELi8EEEENSG_IJLi9EEEEEEENSG_IJLi6ELi7ELi8ELi9EEEElEERKNS2_INS3_IJSR_SC_SE_SE_S1D_S1E_EEENS3_IJSH_SJ_SI_SW_SN_SX_EEES1K_S1L_lEERKNS2_INS3_IJSR_SE_SE_NSA_INS3_IJiNS6_IiLi2EEENS6_IiLi64EEEEEELb0EEES1X_EEENS3_IJSH_SJ_SI_SW_SX_EEENS3_IJSL_SW_SX_NSG_IJLi5ELi6ELi7EEEENSG_IJLi8ELi9ELi10EEEEEEENSG_IJLi5ELi6ELi7ELi8ELi9ELi10EEEElEERKNS_31BlockToCTileMap_M00_N00_M01_N01ILi128ELi128ESZ_Lb0EEENS6_IbXT_EEENS6_IbXT0_EEE, .Lfunc_end1-_ZN2ck28GridwiseGemmDl_km_kn_mn_v1r3ILi256EfffLNS_25InMemoryDataOperationEnumE0ENS_16TensorDescriptorINS_5TupleIJNS_5EmbedINS3_IJiiEEENS3_IJNS_17integral_constantIiLi1EEEiEEELb0EEENS_7UnMergeINS3_IJiS7_EEELb0EEENS_11PassThroughIiEEEEENS3_IJNS_8SequenceIJLi0EEEENSG_IJLi2EEEENSG_IJLi1EEEEEEENS3_IJNSG_IJLi1ELi2EEEENSG_IJLi3ELi4EEEENSG_IJLi5EEEEEEENSG_IJLi3ELi5ELi4EEEElEENS2_INS3_IJNS4_IS5_SB_Lb0EEESC_SE_EEENS3_IJSH_SJ_SI_EEESO_SP_lEENS2_INS3_IJSR_SE_SE_EEEST_NS3_IJSL_NSG_IJLi3EEEENSG_IJLi4EEEEEEESM_lEELi128ELi128ELi16ELi1ELi4ELi4ELi1ENSG_IJLi8ELi2EEEES10_NSG_IJLi2ELi1ELi4ELi1EEEENSG_IJLi8ELi1ELi32ELi1EEEENSG_IJLi0ELi3ELi1ELi2EEEES13_NSG_IJLi1ELi1ELi4ELi1EEEES13_S14_S11_S12_S13_S13_S14_S13_S14_NSG_IJLi0ELi1ELi2ELi3ELi4ELi5EEEELi5ELi4EE3RunILb1ELb1EEEvPKfS19_PfS1A_RKNS2_INS3_IJS9_SC_SE_SE_NSA_INS3_IJiNS6_IiLi128EEEEEELb0EEENSD_IS7_EEEEENS3_IJSH_SI_SJ_SW_SN_SX_EEENS3_IJSL_SM_SN_NSG_IJLi6EEEENSG_IJLi7ELi8EEEENSG_IJLi9EEEEEEENSG_IJLi6ELi7ELi8ELi9EEEElEERKNS2_INS3_IJSR_SC_SE_SE_S1D_S1E_EEENS3_IJSH_SJ_SI_SW_SN_SX_EEES1K_S1L_lEERKNS2_INS3_IJSR_SE_SE_NSA_INS3_IJiNS6_IiLi2EEENS6_IiLi64EEEEEELb0EEES1X_EEENS3_IJSH_SJ_SI_SW_SX_EEENS3_IJSL_SW_SX_NSG_IJLi5ELi6ELi7EEEENSG_IJLi8ELi9ELi10EEEEEEENSG_IJLi5ELi6ELi7ELi8ELi9ELi10EEEElEERKNS_31BlockToCTileMap_M00_N00_M01_N01ILi128ELi128ESZ_Lb0EEENS6_IbXT_EEENS6_IbXT0_EEE
                                        ; -- End function
	.section	.AMDGPU.csdata,"",@progbits
; Function info:
; codeLenInByte = 88456
; NumSgprs: 34
; NumVgprs: 212
; ScratchSize: 0
; MemoryBound: 0
	.section	.text._ZN2ck19kernel_gemm_dl_v1r3INS_28GridwiseGemmDl_km_kn_mn_v1r3ILi256EfffLNS_25InMemoryDataOperationEnumE0ENS_16TensorDescriptorINS_5TupleIJNS_5EmbedINS4_IJiiEEENS4_IJNS_17integral_constantIiLi1EEEiEEELb0EEENS_7UnMergeINS4_IJiS8_EEELb0EEENS_11PassThroughIiEEEEENS4_IJNS_8SequenceIJLi0EEEENSH_IJLi2EEEENSH_IJLi1EEEEEEENS4_IJNSH_IJLi1ELi2EEEENSH_IJLi3ELi4EEEENSH_IJLi5EEEEEEENSH_IJLi3ELi5ELi4EEEElEENS3_INS4_IJNS5_IS6_SC_Lb0EEESD_SF_EEENS4_IJSI_SK_SJ_EEESP_SQ_lEENS3_INS4_IJSS_SF_SF_EEESU_NS4_IJSM_NSH_IJLi3EEEENSH_IJLi4EEEEEEESN_lEELi128ELi128ELi16ELi1ELi4ELi4ELi1ENSH_IJLi8ELi2EEEES11_NSH_IJLi2ELi1ELi4ELi1EEEENSH_IJLi8ELi1ELi32ELi1EEEENSH_IJLi0ELi3ELi1ELi2EEEES14_NSH_IJLi1ELi1ELi4ELi1EEEES14_S15_S12_S13_S14_S14_S15_S14_S15_NSH_IJLi0ELi1ELi2ELi3ELi4ELi5EEEELi5ELi4EEEffNS3_INS4_IJSA_SD_SF_SF_NSB_INS4_IJiNS7_IiLi128EEEEEELb0EEENSE_IS8_EEEEENS4_IJSI_SJ_SK_SX_SO_SY_EEENS4_IJSM_SN_SO_NSH_IJLi6EEEENSH_IJLi7ELi8EEEENSH_IJLi9EEEEEEENSH_IJLi6ELi7ELi8ELi9EEEElEENS3_INS4_IJSS_SD_SF_SF_S1A_S1B_EEENS4_IJSI_SK_SJ_SX_SO_SY_EEES1H_S1I_lEENS3_INS4_IJSS_SF_SF_NSB_INS4_IJiNS7_IiLi2EEENS7_IiLi64EEEEEELb0EEES1Q_EEENS4_IJSI_SK_SJ_SX_SY_EEENS4_IJSM_SX_SY_NSH_IJLi5ELi6ELi7EEEENSH_IJLi8ELi9ELi10EEEEEEENSH_IJLi5ELi6ELi7ELi8ELi9ELi10EEEElEENS_31BlockToCTileMap_M00_N00_M01_N01ILi128ELi128ES10_Lb0EEELb1ELb1EEEvPKT0_S22_PT1_T2_T3_T4_T5_,"axG",@progbits,_ZN2ck19kernel_gemm_dl_v1r3INS_28GridwiseGemmDl_km_kn_mn_v1r3ILi256EfffLNS_25InMemoryDataOperationEnumE0ENS_16TensorDescriptorINS_5TupleIJNS_5EmbedINS4_IJiiEEENS4_IJNS_17integral_constantIiLi1EEEiEEELb0EEENS_7UnMergeINS4_IJiS8_EEELb0EEENS_11PassThroughIiEEEEENS4_IJNS_8SequenceIJLi0EEEENSH_IJLi2EEEENSH_IJLi1EEEEEEENS4_IJNSH_IJLi1ELi2EEEENSH_IJLi3ELi4EEEENSH_IJLi5EEEEEEENSH_IJLi3ELi5ELi4EEEElEENS3_INS4_IJNS5_IS6_SC_Lb0EEESD_SF_EEENS4_IJSI_SK_SJ_EEESP_SQ_lEENS3_INS4_IJSS_SF_SF_EEESU_NS4_IJSM_NSH_IJLi3EEEENSH_IJLi4EEEEEEESN_lEELi128ELi128ELi16ELi1ELi4ELi4ELi1ENSH_IJLi8ELi2EEEES11_NSH_IJLi2ELi1ELi4ELi1EEEENSH_IJLi8ELi1ELi32ELi1EEEENSH_IJLi0ELi3ELi1ELi2EEEES14_NSH_IJLi1ELi1ELi4ELi1EEEES14_S15_S12_S13_S14_S14_S15_S14_S15_NSH_IJLi0ELi1ELi2ELi3ELi4ELi5EEEELi5ELi4EEEffNS3_INS4_IJSA_SD_SF_SF_NSB_INS4_IJiNS7_IiLi128EEEEEELb0EEENSE_IS8_EEEEENS4_IJSI_SJ_SK_SX_SO_SY_EEENS4_IJSM_SN_SO_NSH_IJLi6EEEENSH_IJLi7ELi8EEEENSH_IJLi9EEEEEEENSH_IJLi6ELi7ELi8ELi9EEEElEENS3_INS4_IJSS_SD_SF_SF_S1A_S1B_EEENS4_IJSI_SK_SJ_SX_SO_SY_EEES1H_S1I_lEENS3_INS4_IJSS_SF_SF_NSB_INS4_IJiNS7_IiLi2EEENS7_IiLi64EEEEEELb0EEES1Q_EEENS4_IJSI_SK_SJ_SX_SY_EEENS4_IJSM_SX_SY_NSH_IJLi5ELi6ELi7EEEENSH_IJLi8ELi9ELi10EEEEEEENSH_IJLi5ELi6ELi7ELi8ELi9ELi10EEEElEENS_31BlockToCTileMap_M00_N00_M01_N01ILi128ELi128ES10_Lb0EEELb1ELb1EEEvPKT0_S22_PT1_T2_T3_T4_T5_,comdat
	.protected	_ZN2ck19kernel_gemm_dl_v1r3INS_28GridwiseGemmDl_km_kn_mn_v1r3ILi256EfffLNS_25InMemoryDataOperationEnumE0ENS_16TensorDescriptorINS_5TupleIJNS_5EmbedINS4_IJiiEEENS4_IJNS_17integral_constantIiLi1EEEiEEELb0EEENS_7UnMergeINS4_IJiS8_EEELb0EEENS_11PassThroughIiEEEEENS4_IJNS_8SequenceIJLi0EEEENSH_IJLi2EEEENSH_IJLi1EEEEEEENS4_IJNSH_IJLi1ELi2EEEENSH_IJLi3ELi4EEEENSH_IJLi5EEEEEEENSH_IJLi3ELi5ELi4EEEElEENS3_INS4_IJNS5_IS6_SC_Lb0EEESD_SF_EEENS4_IJSI_SK_SJ_EEESP_SQ_lEENS3_INS4_IJSS_SF_SF_EEESU_NS4_IJSM_NSH_IJLi3EEEENSH_IJLi4EEEEEEESN_lEELi128ELi128ELi16ELi1ELi4ELi4ELi1ENSH_IJLi8ELi2EEEES11_NSH_IJLi2ELi1ELi4ELi1EEEENSH_IJLi8ELi1ELi32ELi1EEEENSH_IJLi0ELi3ELi1ELi2EEEES14_NSH_IJLi1ELi1ELi4ELi1EEEES14_S15_S12_S13_S14_S14_S15_S14_S15_NSH_IJLi0ELi1ELi2ELi3ELi4ELi5EEEELi5ELi4EEEffNS3_INS4_IJSA_SD_SF_SF_NSB_INS4_IJiNS7_IiLi128EEEEEELb0EEENSE_IS8_EEEEENS4_IJSI_SJ_SK_SX_SO_SY_EEENS4_IJSM_SN_SO_NSH_IJLi6EEEENSH_IJLi7ELi8EEEENSH_IJLi9EEEEEEENSH_IJLi6ELi7ELi8ELi9EEEElEENS3_INS4_IJSS_SD_SF_SF_S1A_S1B_EEENS4_IJSI_SK_SJ_SX_SO_SY_EEES1H_S1I_lEENS3_INS4_IJSS_SF_SF_NSB_INS4_IJiNS7_IiLi2EEENS7_IiLi64EEEEEELb0EEES1Q_EEENS4_IJSI_SK_SJ_SX_SY_EEENS4_IJSM_SX_SY_NSH_IJLi5ELi6ELi7EEEENSH_IJLi8ELi9ELi10EEEEEEENSH_IJLi5ELi6ELi7ELi8ELi9ELi10EEEElEENS_31BlockToCTileMap_M00_N00_M01_N01ILi128ELi128ES10_Lb0EEELb1ELb1EEEvPKT0_S22_PT1_T2_T3_T4_T5_ ; -- Begin function _ZN2ck19kernel_gemm_dl_v1r3INS_28GridwiseGemmDl_km_kn_mn_v1r3ILi256EfffLNS_25InMemoryDataOperationEnumE0ENS_16TensorDescriptorINS_5TupleIJNS_5EmbedINS4_IJiiEEENS4_IJNS_17integral_constantIiLi1EEEiEEELb0EEENS_7UnMergeINS4_IJiS8_EEELb0EEENS_11PassThroughIiEEEEENS4_IJNS_8SequenceIJLi0EEEENSH_IJLi2EEEENSH_IJLi1EEEEEEENS4_IJNSH_IJLi1ELi2EEEENSH_IJLi3ELi4EEEENSH_IJLi5EEEEEEENSH_IJLi3ELi5ELi4EEEElEENS3_INS4_IJNS5_IS6_SC_Lb0EEESD_SF_EEENS4_IJSI_SK_SJ_EEESP_SQ_lEENS3_INS4_IJSS_SF_SF_EEESU_NS4_IJSM_NSH_IJLi3EEEENSH_IJLi4EEEEEEESN_lEELi128ELi128ELi16ELi1ELi4ELi4ELi1ENSH_IJLi8ELi2EEEES11_NSH_IJLi2ELi1ELi4ELi1EEEENSH_IJLi8ELi1ELi32ELi1EEEENSH_IJLi0ELi3ELi1ELi2EEEES14_NSH_IJLi1ELi1ELi4ELi1EEEES14_S15_S12_S13_S14_S14_S15_S14_S15_NSH_IJLi0ELi1ELi2ELi3ELi4ELi5EEEELi5ELi4EEEffNS3_INS4_IJSA_SD_SF_SF_NSB_INS4_IJiNS7_IiLi128EEEEEELb0EEENSE_IS8_EEEEENS4_IJSI_SJ_SK_SX_SO_SY_EEENS4_IJSM_SN_SO_NSH_IJLi6EEEENSH_IJLi7ELi8EEEENSH_IJLi9EEEEEEENSH_IJLi6ELi7ELi8ELi9EEEElEENS3_INS4_IJSS_SD_SF_SF_S1A_S1B_EEENS4_IJSI_SK_SJ_SX_SO_SY_EEES1H_S1I_lEENS3_INS4_IJSS_SF_SF_NSB_INS4_IJiNS7_IiLi2EEENS7_IiLi64EEEEEELb0EEES1Q_EEENS4_IJSI_SK_SJ_SX_SY_EEENS4_IJSM_SX_SY_NSH_IJLi5ELi6ELi7EEEENSH_IJLi8ELi9ELi10EEEEEEENSH_IJLi5ELi6ELi7ELi8ELi9ELi10EEEElEENS_31BlockToCTileMap_M00_N00_M01_N01ILi128ELi128ES10_Lb0EEELb1ELb1EEEvPKT0_S22_PT1_T2_T3_T4_T5_
	.globl	_ZN2ck19kernel_gemm_dl_v1r3INS_28GridwiseGemmDl_km_kn_mn_v1r3ILi256EfffLNS_25InMemoryDataOperationEnumE0ENS_16TensorDescriptorINS_5TupleIJNS_5EmbedINS4_IJiiEEENS4_IJNS_17integral_constantIiLi1EEEiEEELb0EEENS_7UnMergeINS4_IJiS8_EEELb0EEENS_11PassThroughIiEEEEENS4_IJNS_8SequenceIJLi0EEEENSH_IJLi2EEEENSH_IJLi1EEEEEEENS4_IJNSH_IJLi1ELi2EEEENSH_IJLi3ELi4EEEENSH_IJLi5EEEEEEENSH_IJLi3ELi5ELi4EEEElEENS3_INS4_IJNS5_IS6_SC_Lb0EEESD_SF_EEENS4_IJSI_SK_SJ_EEESP_SQ_lEENS3_INS4_IJSS_SF_SF_EEESU_NS4_IJSM_NSH_IJLi3EEEENSH_IJLi4EEEEEEESN_lEELi128ELi128ELi16ELi1ELi4ELi4ELi1ENSH_IJLi8ELi2EEEES11_NSH_IJLi2ELi1ELi4ELi1EEEENSH_IJLi8ELi1ELi32ELi1EEEENSH_IJLi0ELi3ELi1ELi2EEEES14_NSH_IJLi1ELi1ELi4ELi1EEEES14_S15_S12_S13_S14_S14_S15_S14_S15_NSH_IJLi0ELi1ELi2ELi3ELi4ELi5EEEELi5ELi4EEEffNS3_INS4_IJSA_SD_SF_SF_NSB_INS4_IJiNS7_IiLi128EEEEEELb0EEENSE_IS8_EEEEENS4_IJSI_SJ_SK_SX_SO_SY_EEENS4_IJSM_SN_SO_NSH_IJLi6EEEENSH_IJLi7ELi8EEEENSH_IJLi9EEEEEEENSH_IJLi6ELi7ELi8ELi9EEEElEENS3_INS4_IJSS_SD_SF_SF_S1A_S1B_EEENS4_IJSI_SK_SJ_SX_SO_SY_EEES1H_S1I_lEENS3_INS4_IJSS_SF_SF_NSB_INS4_IJiNS7_IiLi2EEENS7_IiLi64EEEEEELb0EEES1Q_EEENS4_IJSI_SK_SJ_SX_SY_EEENS4_IJSM_SX_SY_NSH_IJLi5ELi6ELi7EEEENSH_IJLi8ELi9ELi10EEEEEEENSH_IJLi5ELi6ELi7ELi8ELi9ELi10EEEElEENS_31BlockToCTileMap_M00_N00_M01_N01ILi128ELi128ES10_Lb0EEELb1ELb1EEEvPKT0_S22_PT1_T2_T3_T4_T5_
	.p2align	8
	.type	_ZN2ck19kernel_gemm_dl_v1r3INS_28GridwiseGemmDl_km_kn_mn_v1r3ILi256EfffLNS_25InMemoryDataOperationEnumE0ENS_16TensorDescriptorINS_5TupleIJNS_5EmbedINS4_IJiiEEENS4_IJNS_17integral_constantIiLi1EEEiEEELb0EEENS_7UnMergeINS4_IJiS8_EEELb0EEENS_11PassThroughIiEEEEENS4_IJNS_8SequenceIJLi0EEEENSH_IJLi2EEEENSH_IJLi1EEEEEEENS4_IJNSH_IJLi1ELi2EEEENSH_IJLi3ELi4EEEENSH_IJLi5EEEEEEENSH_IJLi3ELi5ELi4EEEElEENS3_INS4_IJNS5_IS6_SC_Lb0EEESD_SF_EEENS4_IJSI_SK_SJ_EEESP_SQ_lEENS3_INS4_IJSS_SF_SF_EEESU_NS4_IJSM_NSH_IJLi3EEEENSH_IJLi4EEEEEEESN_lEELi128ELi128ELi16ELi1ELi4ELi4ELi1ENSH_IJLi8ELi2EEEES11_NSH_IJLi2ELi1ELi4ELi1EEEENSH_IJLi8ELi1ELi32ELi1EEEENSH_IJLi0ELi3ELi1ELi2EEEES14_NSH_IJLi1ELi1ELi4ELi1EEEES14_S15_S12_S13_S14_S14_S15_S14_S15_NSH_IJLi0ELi1ELi2ELi3ELi4ELi5EEEELi5ELi4EEEffNS3_INS4_IJSA_SD_SF_SF_NSB_INS4_IJiNS7_IiLi128EEEEEELb0EEENSE_IS8_EEEEENS4_IJSI_SJ_SK_SX_SO_SY_EEENS4_IJSM_SN_SO_NSH_IJLi6EEEENSH_IJLi7ELi8EEEENSH_IJLi9EEEEEEENSH_IJLi6ELi7ELi8ELi9EEEElEENS3_INS4_IJSS_SD_SF_SF_S1A_S1B_EEENS4_IJSI_SK_SJ_SX_SO_SY_EEES1H_S1I_lEENS3_INS4_IJSS_SF_SF_NSB_INS4_IJiNS7_IiLi2EEENS7_IiLi64EEEEEELb0EEES1Q_EEENS4_IJSI_SK_SJ_SX_SY_EEENS4_IJSM_SX_SY_NSH_IJLi5ELi6ELi7EEEENSH_IJLi8ELi9ELi10EEEEEEENSH_IJLi5ELi6ELi7ELi8ELi9ELi10EEEElEENS_31BlockToCTileMap_M00_N00_M01_N01ILi128ELi128ES10_Lb0EEELb1ELb1EEEvPKT0_S22_PT1_T2_T3_T4_T5_,@function
_ZN2ck19kernel_gemm_dl_v1r3INS_28GridwiseGemmDl_km_kn_mn_v1r3ILi256EfffLNS_25InMemoryDataOperationEnumE0ENS_16TensorDescriptorINS_5TupleIJNS_5EmbedINS4_IJiiEEENS4_IJNS_17integral_constantIiLi1EEEiEEELb0EEENS_7UnMergeINS4_IJiS8_EEELb0EEENS_11PassThroughIiEEEEENS4_IJNS_8SequenceIJLi0EEEENSH_IJLi2EEEENSH_IJLi1EEEEEEENS4_IJNSH_IJLi1ELi2EEEENSH_IJLi3ELi4EEEENSH_IJLi5EEEEEEENSH_IJLi3ELi5ELi4EEEElEENS3_INS4_IJNS5_IS6_SC_Lb0EEESD_SF_EEENS4_IJSI_SK_SJ_EEESP_SQ_lEENS3_INS4_IJSS_SF_SF_EEESU_NS4_IJSM_NSH_IJLi3EEEENSH_IJLi4EEEEEEESN_lEELi128ELi128ELi16ELi1ELi4ELi4ELi1ENSH_IJLi8ELi2EEEES11_NSH_IJLi2ELi1ELi4ELi1EEEENSH_IJLi8ELi1ELi32ELi1EEEENSH_IJLi0ELi3ELi1ELi2EEEES14_NSH_IJLi1ELi1ELi4ELi1EEEES14_S15_S12_S13_S14_S14_S15_S14_S15_NSH_IJLi0ELi1ELi2ELi3ELi4ELi5EEEELi5ELi4EEEffNS3_INS4_IJSA_SD_SF_SF_NSB_INS4_IJiNS7_IiLi128EEEEEELb0EEENSE_IS8_EEEEENS4_IJSI_SJ_SK_SX_SO_SY_EEENS4_IJSM_SN_SO_NSH_IJLi6EEEENSH_IJLi7ELi8EEEENSH_IJLi9EEEEEEENSH_IJLi6ELi7ELi8ELi9EEEElEENS3_INS4_IJSS_SD_SF_SF_S1A_S1B_EEENS4_IJSI_SK_SJ_SX_SO_SY_EEES1H_S1I_lEENS3_INS4_IJSS_SF_SF_NSB_INS4_IJiNS7_IiLi2EEENS7_IiLi64EEEEEELb0EEES1Q_EEENS4_IJSI_SK_SJ_SX_SY_EEENS4_IJSM_SX_SY_NSH_IJLi5ELi6ELi7EEEENSH_IJLi8ELi9ELi10EEEEEEENSH_IJLi5ELi6ELi7ELi8ELi9ELi10EEEElEENS_31BlockToCTileMap_M00_N00_M01_N01ILi128ELi128ES10_Lb0EEELb1ELb1EEEvPKT0_S22_PT1_T2_T3_T4_T5_: ; @_ZN2ck19kernel_gemm_dl_v1r3INS_28GridwiseGemmDl_km_kn_mn_v1r3ILi256EfffLNS_25InMemoryDataOperationEnumE0ENS_16TensorDescriptorINS_5TupleIJNS_5EmbedINS4_IJiiEEENS4_IJNS_17integral_constantIiLi1EEEiEEELb0EEENS_7UnMergeINS4_IJiS8_EEELb0EEENS_11PassThroughIiEEEEENS4_IJNS_8SequenceIJLi0EEEENSH_IJLi2EEEENSH_IJLi1EEEEEEENS4_IJNSH_IJLi1ELi2EEEENSH_IJLi3ELi4EEEENSH_IJLi5EEEEEEENSH_IJLi3ELi5ELi4EEEElEENS3_INS4_IJNS5_IS6_SC_Lb0EEESD_SF_EEENS4_IJSI_SK_SJ_EEESP_SQ_lEENS3_INS4_IJSS_SF_SF_EEESU_NS4_IJSM_NSH_IJLi3EEEENSH_IJLi4EEEEEEESN_lEELi128ELi128ELi16ELi1ELi4ELi4ELi1ENSH_IJLi8ELi2EEEES11_NSH_IJLi2ELi1ELi4ELi1EEEENSH_IJLi8ELi1ELi32ELi1EEEENSH_IJLi0ELi3ELi1ELi2EEEES14_NSH_IJLi1ELi1ELi4ELi1EEEES14_S15_S12_S13_S14_S14_S15_S14_S15_NSH_IJLi0ELi1ELi2ELi3ELi4ELi5EEEELi5ELi4EEEffNS3_INS4_IJSA_SD_SF_SF_NSB_INS4_IJiNS7_IiLi128EEEEEELb0EEENSE_IS8_EEEEENS4_IJSI_SJ_SK_SX_SO_SY_EEENS4_IJSM_SN_SO_NSH_IJLi6EEEENSH_IJLi7ELi8EEEENSH_IJLi9EEEEEEENSH_IJLi6ELi7ELi8ELi9EEEElEENS3_INS4_IJSS_SD_SF_SF_S1A_S1B_EEENS4_IJSI_SK_SJ_SX_SO_SY_EEES1H_S1I_lEENS3_INS4_IJSS_SF_SF_NSB_INS4_IJiNS7_IiLi2EEENS7_IiLi64EEEEEELb0EEES1Q_EEENS4_IJSI_SK_SJ_SX_SY_EEENS4_IJSM_SX_SY_NSH_IJLi5ELi6ELi7EEEENSH_IJLi8ELi9ELi10EEEEEEENSH_IJLi5ELi6ELi7ELi8ELi9ELi10EEEElEENS_31BlockToCTileMap_M00_N00_M01_N01ILi128ELi128ES10_Lb0EEELb1ELb1EEEvPKT0_S22_PT1_T2_T3_T4_T5_
; %bb.0:
	s_clause 0x3
	s_load_b256 s[16:23], s[0:1], 0x38
	s_load_b256 s[24:31], s[0:1], 0x18
	;; [unrolled: 1-line block ×4, first 2 shown]
	s_mov_b32 s12, s15
	s_clause 0x7
	s_load_b128 s[4:7], s[0:1], 0x0
	s_load_b64 s[14:15], s[0:1], 0x10
	s_load_b256 s[52:59], s[0:1], 0x98
	s_load_b256 s[60:67], s[0:1], 0xb8
	;; [unrolled: 1-line block ×5, first 2 shown]
	s_load_b128 s[8:11], s[0:1], 0x138
	s_mov_b64 s[2:3], src_private_base
	s_movk_i32 s32, 0x140
	s_waitcnt lgkmcnt(0)
	v_dual_mov_b32 v1, s20 :: v_dual_mov_b32 v2, s21
	v_dual_mov_b32 v3, s22 :: v_dual_mov_b32 v4, s23
	;; [unrolled: 1-line block ×16, first 2 shown]
	s_clause 0x7
	scratch_store_b128 off, v[1:4], off offset:48
	scratch_store_b128 off, v[5:8], off offset:32
	;; [unrolled: 1-line block ×3, first 2 shown]
	scratch_store_b128 off, v[13:16], off
	scratch_store_b128 off, v[17:20], off offset:64
	scratch_store_b128 off, v[21:24], off offset:80
	;; [unrolled: 1-line block ×4, first 2 shown]
	v_dual_mov_b32 v1, s64 :: v_dual_mov_b32 v2, s65
	v_dual_mov_b32 v3, s66 :: v_dual_mov_b32 v4, s67
	;; [unrolled: 1-line block ×10, first 2 shown]
	s_clause 0x4
	scratch_store_b128 off, v[1:4], off offset:176
	scratch_store_b128 off, v[5:8], off offset:160
	;; [unrolled: 1-line block ×5, first 2 shown]
	v_dual_mov_b32 v1, s88 :: v_dual_mov_b32 v2, s89
	v_dual_mov_b32 v3, s90 :: v_dual_mov_b32 v4, s91
	;; [unrolled: 1-line block ×12, first 2 shown]
	s_clause 0x5
	scratch_store_b128 off, v[1:4], off offset:272
	scratch_store_b128 off, v[5:8], off offset:256
	;; [unrolled: 1-line block ×6, first 2 shown]
	v_dual_mov_b32 v31, v0 :: v_dual_mov_b32 v0, s4
	v_dual_mov_b32 v1, s5 :: v_dual_mov_b32 v2, s6
	;; [unrolled: 1-line block ×7, first 2 shown]
	v_mov_b32_e32 v13, s3
	s_add_u32 s8, s0, 0x148
	s_addc_u32 s9, s1, 0
	s_getpc_b64 s[0:1]
	s_add_u32 s0, s0, _ZN2ck28GridwiseGemmDl_km_kn_mn_v1r3ILi256EfffLNS_25InMemoryDataOperationEnumE0ENS_16TensorDescriptorINS_5TupleIJNS_5EmbedINS3_IJiiEEENS3_IJNS_17integral_constantIiLi1EEEiEEELb0EEENS_7UnMergeINS3_IJiS7_EEELb0EEENS_11PassThroughIiEEEEENS3_IJNS_8SequenceIJLi0EEEENSG_IJLi2EEEENSG_IJLi1EEEEEEENS3_IJNSG_IJLi1ELi2EEEENSG_IJLi3ELi4EEEENSG_IJLi5EEEEEEENSG_IJLi3ELi5ELi4EEEElEENS2_INS3_IJNS4_IS5_SB_Lb0EEESC_SE_EEENS3_IJSH_SJ_SI_EEESO_SP_lEENS2_INS3_IJSR_SE_SE_EEEST_NS3_IJSL_NSG_IJLi3EEEENSG_IJLi4EEEEEEESM_lEELi128ELi128ELi16ELi1ELi4ELi4ELi1ENSG_IJLi8ELi2EEEES10_NSG_IJLi2ELi1ELi4ELi1EEEENSG_IJLi8ELi1ELi32ELi1EEEENSG_IJLi0ELi3ELi1ELi2EEEES13_NSG_IJLi1ELi1ELi4ELi1EEEES13_S14_S11_S12_S13_S13_S14_S13_S14_NSG_IJLi0ELi1ELi2ELi3ELi4ELi5EEEELi5ELi4EE3RunILb1ELb1EEEvPKfS19_PfS1A_RKNS2_INS3_IJS9_SC_SE_SE_NSA_INS3_IJiNS6_IiLi128EEEEEELb0EEENSD_IS7_EEEEENS3_IJSH_SI_SJ_SW_SN_SX_EEENS3_IJSL_SM_SN_NSG_IJLi6EEEENSG_IJLi7ELi8EEEENSG_IJLi9EEEEEEENSG_IJLi6ELi7ELi8ELi9EEEElEERKNS2_INS3_IJSR_SC_SE_SE_S1D_S1E_EEENS3_IJSH_SJ_SI_SW_SN_SX_EEES1K_S1L_lEERKNS2_INS3_IJSR_SE_SE_NSA_INS3_IJiNS6_IiLi2EEENS6_IiLi64EEEEEELb0EEES1X_EEENS3_IJSH_SJ_SI_SW_SX_EEENS3_IJSL_SW_SX_NSG_IJLi5ELi6ELi7EEEENSG_IJLi8ELi9ELi10EEEEEEENSG_IJLi5ELi6ELi7ELi8ELi9ELi10EEEElEERKNS_31BlockToCTileMap_M00_N00_M01_N01ILi128ELi128ESZ_Lb0EEENS6_IbXT_EEENS6_IbXT0_EEE@rel32@lo+4
	s_addc_u32 s1, s1, _ZN2ck28GridwiseGemmDl_km_kn_mn_v1r3ILi256EfffLNS_25InMemoryDataOperationEnumE0ENS_16TensorDescriptorINS_5TupleIJNS_5EmbedINS3_IJiiEEENS3_IJNS_17integral_constantIiLi1EEEiEEELb0EEENS_7UnMergeINS3_IJiS7_EEELb0EEENS_11PassThroughIiEEEEENS3_IJNS_8SequenceIJLi0EEEENSG_IJLi2EEEENSG_IJLi1EEEEEEENS3_IJNSG_IJLi1ELi2EEEENSG_IJLi3ELi4EEEENSG_IJLi5EEEEEEENSG_IJLi3ELi5ELi4EEEElEENS2_INS3_IJNS4_IS5_SB_Lb0EEESC_SE_EEENS3_IJSH_SJ_SI_EEESO_SP_lEENS2_INS3_IJSR_SE_SE_EEEST_NS3_IJSL_NSG_IJLi3EEEENSG_IJLi4EEEEEEESM_lEELi128ELi128ELi16ELi1ELi4ELi4ELi1ENSG_IJLi8ELi2EEEES10_NSG_IJLi2ELi1ELi4ELi1EEEENSG_IJLi8ELi1ELi32ELi1EEEENSG_IJLi0ELi3ELi1ELi2EEEES13_NSG_IJLi1ELi1ELi4ELi1EEEES13_S14_S11_S12_S13_S13_S14_S13_S14_NSG_IJLi0ELi1ELi2ELi3ELi4ELi5EEEELi5ELi4EE3RunILb1ELb1EEEvPKfS19_PfS1A_RKNS2_INS3_IJS9_SC_SE_SE_NSA_INS3_IJiNS6_IiLi128EEEEEELb0EEENSD_IS7_EEEEENS3_IJSH_SI_SJ_SW_SN_SX_EEENS3_IJSL_SM_SN_NSG_IJLi6EEEENSG_IJLi7ELi8EEEENSG_IJLi9EEEEEEENSG_IJLi6ELi7ELi8ELi9EEEElEERKNS2_INS3_IJSR_SC_SE_SE_S1D_S1E_EEENS3_IJSH_SJ_SI_SW_SN_SX_EEES1K_S1L_lEERKNS2_INS3_IJSR_SE_SE_NSA_INS3_IJiNS6_IiLi2EEENS6_IiLi64EEEEEELb0EEES1X_EEENS3_IJSH_SJ_SI_SW_SX_EEENS3_IJSL_SW_SX_NSG_IJLi5ELi6ELi7EEEENSG_IJLi8ELi9ELi10EEEEEEENSG_IJLi5ELi6ELi7ELi8ELi9ELi10EEEElEERKNS_31BlockToCTileMap_M00_N00_M01_N01ILi128ELi128ESZ_Lb0EEENS6_IbXT_EEENS6_IbXT0_EEE@rel32@hi+12
	s_delay_alu instid0(SALU_CYCLE_1)
	s_swappc_b64 s[30:31], s[0:1]
	s_endpgm
	.section	.rodata,"a",@progbits
	.p2align	6, 0x0
	.amdhsa_kernel _ZN2ck19kernel_gemm_dl_v1r3INS_28GridwiseGemmDl_km_kn_mn_v1r3ILi256EfffLNS_25InMemoryDataOperationEnumE0ENS_16TensorDescriptorINS_5TupleIJNS_5EmbedINS4_IJiiEEENS4_IJNS_17integral_constantIiLi1EEEiEEELb0EEENS_7UnMergeINS4_IJiS8_EEELb0EEENS_11PassThroughIiEEEEENS4_IJNS_8SequenceIJLi0EEEENSH_IJLi2EEEENSH_IJLi1EEEEEEENS4_IJNSH_IJLi1ELi2EEEENSH_IJLi3ELi4EEEENSH_IJLi5EEEEEEENSH_IJLi3ELi5ELi4EEEElEENS3_INS4_IJNS5_IS6_SC_Lb0EEESD_SF_EEENS4_IJSI_SK_SJ_EEESP_SQ_lEENS3_INS4_IJSS_SF_SF_EEESU_NS4_IJSM_NSH_IJLi3EEEENSH_IJLi4EEEEEEESN_lEELi128ELi128ELi16ELi1ELi4ELi4ELi1ENSH_IJLi8ELi2EEEES11_NSH_IJLi2ELi1ELi4ELi1EEEENSH_IJLi8ELi1ELi32ELi1EEEENSH_IJLi0ELi3ELi1ELi2EEEES14_NSH_IJLi1ELi1ELi4ELi1EEEES14_S15_S12_S13_S14_S14_S15_S14_S15_NSH_IJLi0ELi1ELi2ELi3ELi4ELi5EEEELi5ELi4EEEffNS3_INS4_IJSA_SD_SF_SF_NSB_INS4_IJiNS7_IiLi128EEEEEELb0EEENSE_IS8_EEEEENS4_IJSI_SJ_SK_SX_SO_SY_EEENS4_IJSM_SN_SO_NSH_IJLi6EEEENSH_IJLi7ELi8EEEENSH_IJLi9EEEEEEENSH_IJLi6ELi7ELi8ELi9EEEElEENS3_INS4_IJSS_SD_SF_SF_S1A_S1B_EEENS4_IJSI_SK_SJ_SX_SO_SY_EEES1H_S1I_lEENS3_INS4_IJSS_SF_SF_NSB_INS4_IJiNS7_IiLi2EEENS7_IiLi64EEEEEELb0EEES1Q_EEENS4_IJSI_SK_SJ_SX_SY_EEENS4_IJSM_SX_SY_NSH_IJLi5ELi6ELi7EEEENSH_IJLi8ELi9ELi10EEEEEEENSH_IJLi5ELi6ELi7ELi8ELi9ELi10EEEElEENS_31BlockToCTileMap_M00_N00_M01_N01ILi128ELi128ES10_Lb0EEELb1ELb1EEEvPKT0_S22_PT1_T2_T3_T4_T5_
		.amdhsa_group_segment_fixed_size 32768
		.amdhsa_private_segment_fixed_size 320
		.amdhsa_kernarg_size 584
		.amdhsa_user_sgpr_count 15
		.amdhsa_user_sgpr_dispatch_ptr 0
		.amdhsa_user_sgpr_queue_ptr 0
		.amdhsa_user_sgpr_kernarg_segment_ptr 1
		.amdhsa_user_sgpr_dispatch_id 0
		.amdhsa_user_sgpr_private_segment_size 0
		.amdhsa_wavefront_size32 1
		.amdhsa_uses_dynamic_stack 0
		.amdhsa_enable_private_segment 1
		.amdhsa_system_sgpr_workgroup_id_x 1
		.amdhsa_system_sgpr_workgroup_id_y 0
		.amdhsa_system_sgpr_workgroup_id_z 0
		.amdhsa_system_sgpr_workgroup_info 0
		.amdhsa_system_vgpr_workitem_id 0
		.amdhsa_next_free_vgpr 212
		.amdhsa_next_free_sgpr 92
		.amdhsa_reserve_vcc 1
		.amdhsa_float_round_mode_32 0
		.amdhsa_float_round_mode_16_64 0
		.amdhsa_float_denorm_mode_32 3
		.amdhsa_float_denorm_mode_16_64 3
		.amdhsa_dx10_clamp 1
		.amdhsa_ieee_mode 1
		.amdhsa_fp16_overflow 0
		.amdhsa_workgroup_processor_mode 1
		.amdhsa_memory_ordered 1
		.amdhsa_forward_progress 0
		.amdhsa_shared_vgpr_count 0
		.amdhsa_exception_fp_ieee_invalid_op 0
		.amdhsa_exception_fp_denorm_src 0
		.amdhsa_exception_fp_ieee_div_zero 0
		.amdhsa_exception_fp_ieee_overflow 0
		.amdhsa_exception_fp_ieee_underflow 0
		.amdhsa_exception_fp_ieee_inexact 0
		.amdhsa_exception_int_div_zero 0
	.end_amdhsa_kernel
	.section	.text._ZN2ck19kernel_gemm_dl_v1r3INS_28GridwiseGemmDl_km_kn_mn_v1r3ILi256EfffLNS_25InMemoryDataOperationEnumE0ENS_16TensorDescriptorINS_5TupleIJNS_5EmbedINS4_IJiiEEENS4_IJNS_17integral_constantIiLi1EEEiEEELb0EEENS_7UnMergeINS4_IJiS8_EEELb0EEENS_11PassThroughIiEEEEENS4_IJNS_8SequenceIJLi0EEEENSH_IJLi2EEEENSH_IJLi1EEEEEEENS4_IJNSH_IJLi1ELi2EEEENSH_IJLi3ELi4EEEENSH_IJLi5EEEEEEENSH_IJLi3ELi5ELi4EEEElEENS3_INS4_IJNS5_IS6_SC_Lb0EEESD_SF_EEENS4_IJSI_SK_SJ_EEESP_SQ_lEENS3_INS4_IJSS_SF_SF_EEESU_NS4_IJSM_NSH_IJLi3EEEENSH_IJLi4EEEEEEESN_lEELi128ELi128ELi16ELi1ELi4ELi4ELi1ENSH_IJLi8ELi2EEEES11_NSH_IJLi2ELi1ELi4ELi1EEEENSH_IJLi8ELi1ELi32ELi1EEEENSH_IJLi0ELi3ELi1ELi2EEEES14_NSH_IJLi1ELi1ELi4ELi1EEEES14_S15_S12_S13_S14_S14_S15_S14_S15_NSH_IJLi0ELi1ELi2ELi3ELi4ELi5EEEELi5ELi4EEEffNS3_INS4_IJSA_SD_SF_SF_NSB_INS4_IJiNS7_IiLi128EEEEEELb0EEENSE_IS8_EEEEENS4_IJSI_SJ_SK_SX_SO_SY_EEENS4_IJSM_SN_SO_NSH_IJLi6EEEENSH_IJLi7ELi8EEEENSH_IJLi9EEEEEEENSH_IJLi6ELi7ELi8ELi9EEEElEENS3_INS4_IJSS_SD_SF_SF_S1A_S1B_EEENS4_IJSI_SK_SJ_SX_SO_SY_EEES1H_S1I_lEENS3_INS4_IJSS_SF_SF_NSB_INS4_IJiNS7_IiLi2EEENS7_IiLi64EEEEEELb0EEES1Q_EEENS4_IJSI_SK_SJ_SX_SY_EEENS4_IJSM_SX_SY_NSH_IJLi5ELi6ELi7EEEENSH_IJLi8ELi9ELi10EEEEEEENSH_IJLi5ELi6ELi7ELi8ELi9ELi10EEEElEENS_31BlockToCTileMap_M00_N00_M01_N01ILi128ELi128ES10_Lb0EEELb1ELb1EEEvPKT0_S22_PT1_T2_T3_T4_T5_,"axG",@progbits,_ZN2ck19kernel_gemm_dl_v1r3INS_28GridwiseGemmDl_km_kn_mn_v1r3ILi256EfffLNS_25InMemoryDataOperationEnumE0ENS_16TensorDescriptorINS_5TupleIJNS_5EmbedINS4_IJiiEEENS4_IJNS_17integral_constantIiLi1EEEiEEELb0EEENS_7UnMergeINS4_IJiS8_EEELb0EEENS_11PassThroughIiEEEEENS4_IJNS_8SequenceIJLi0EEEENSH_IJLi2EEEENSH_IJLi1EEEEEEENS4_IJNSH_IJLi1ELi2EEEENSH_IJLi3ELi4EEEENSH_IJLi5EEEEEEENSH_IJLi3ELi5ELi4EEEElEENS3_INS4_IJNS5_IS6_SC_Lb0EEESD_SF_EEENS4_IJSI_SK_SJ_EEESP_SQ_lEENS3_INS4_IJSS_SF_SF_EEESU_NS4_IJSM_NSH_IJLi3EEEENSH_IJLi4EEEEEEESN_lEELi128ELi128ELi16ELi1ELi4ELi4ELi1ENSH_IJLi8ELi2EEEES11_NSH_IJLi2ELi1ELi4ELi1EEEENSH_IJLi8ELi1ELi32ELi1EEEENSH_IJLi0ELi3ELi1ELi2EEEES14_NSH_IJLi1ELi1ELi4ELi1EEEES14_S15_S12_S13_S14_S14_S15_S14_S15_NSH_IJLi0ELi1ELi2ELi3ELi4ELi5EEEELi5ELi4EEEffNS3_INS4_IJSA_SD_SF_SF_NSB_INS4_IJiNS7_IiLi128EEEEEELb0EEENSE_IS8_EEEEENS4_IJSI_SJ_SK_SX_SO_SY_EEENS4_IJSM_SN_SO_NSH_IJLi6EEEENSH_IJLi7ELi8EEEENSH_IJLi9EEEEEEENSH_IJLi6ELi7ELi8ELi9EEEElEENS3_INS4_IJSS_SD_SF_SF_S1A_S1B_EEENS4_IJSI_SK_SJ_SX_SO_SY_EEES1H_S1I_lEENS3_INS4_IJSS_SF_SF_NSB_INS4_IJiNS7_IiLi2EEENS7_IiLi64EEEEEELb0EEES1Q_EEENS4_IJSI_SK_SJ_SX_SY_EEENS4_IJSM_SX_SY_NSH_IJLi5ELi6ELi7EEEENSH_IJLi8ELi9ELi10EEEEEEENSH_IJLi5ELi6ELi7ELi8ELi9ELi10EEEElEENS_31BlockToCTileMap_M00_N00_M01_N01ILi128ELi128ES10_Lb0EEELb1ELb1EEEvPKT0_S22_PT1_T2_T3_T4_T5_,comdat
.Lfunc_end2:
	.size	_ZN2ck19kernel_gemm_dl_v1r3INS_28GridwiseGemmDl_km_kn_mn_v1r3ILi256EfffLNS_25InMemoryDataOperationEnumE0ENS_16TensorDescriptorINS_5TupleIJNS_5EmbedINS4_IJiiEEENS4_IJNS_17integral_constantIiLi1EEEiEEELb0EEENS_7UnMergeINS4_IJiS8_EEELb0EEENS_11PassThroughIiEEEEENS4_IJNS_8SequenceIJLi0EEEENSH_IJLi2EEEENSH_IJLi1EEEEEEENS4_IJNSH_IJLi1ELi2EEEENSH_IJLi3ELi4EEEENSH_IJLi5EEEEEEENSH_IJLi3ELi5ELi4EEEElEENS3_INS4_IJNS5_IS6_SC_Lb0EEESD_SF_EEENS4_IJSI_SK_SJ_EEESP_SQ_lEENS3_INS4_IJSS_SF_SF_EEESU_NS4_IJSM_NSH_IJLi3EEEENSH_IJLi4EEEEEEESN_lEELi128ELi128ELi16ELi1ELi4ELi4ELi1ENSH_IJLi8ELi2EEEES11_NSH_IJLi2ELi1ELi4ELi1EEEENSH_IJLi8ELi1ELi32ELi1EEEENSH_IJLi0ELi3ELi1ELi2EEEES14_NSH_IJLi1ELi1ELi4ELi1EEEES14_S15_S12_S13_S14_S14_S15_S14_S15_NSH_IJLi0ELi1ELi2ELi3ELi4ELi5EEEELi5ELi4EEEffNS3_INS4_IJSA_SD_SF_SF_NSB_INS4_IJiNS7_IiLi128EEEEEELb0EEENSE_IS8_EEEEENS4_IJSI_SJ_SK_SX_SO_SY_EEENS4_IJSM_SN_SO_NSH_IJLi6EEEENSH_IJLi7ELi8EEEENSH_IJLi9EEEEEEENSH_IJLi6ELi7ELi8ELi9EEEElEENS3_INS4_IJSS_SD_SF_SF_S1A_S1B_EEENS4_IJSI_SK_SJ_SX_SO_SY_EEES1H_S1I_lEENS3_INS4_IJSS_SF_SF_NSB_INS4_IJiNS7_IiLi2EEENS7_IiLi64EEEEEELb0EEES1Q_EEENS4_IJSI_SK_SJ_SX_SY_EEENS4_IJSM_SX_SY_NSH_IJLi5ELi6ELi7EEEENSH_IJLi8ELi9ELi10EEEEEEENSH_IJLi5ELi6ELi7ELi8ELi9ELi10EEEElEENS_31BlockToCTileMap_M00_N00_M01_N01ILi128ELi128ES10_Lb0EEELb1ELb1EEEvPKT0_S22_PT1_T2_T3_T4_T5_, .Lfunc_end2-_ZN2ck19kernel_gemm_dl_v1r3INS_28GridwiseGemmDl_km_kn_mn_v1r3ILi256EfffLNS_25InMemoryDataOperationEnumE0ENS_16TensorDescriptorINS_5TupleIJNS_5EmbedINS4_IJiiEEENS4_IJNS_17integral_constantIiLi1EEEiEEELb0EEENS_7UnMergeINS4_IJiS8_EEELb0EEENS_11PassThroughIiEEEEENS4_IJNS_8SequenceIJLi0EEEENSH_IJLi2EEEENSH_IJLi1EEEEEEENS4_IJNSH_IJLi1ELi2EEEENSH_IJLi3ELi4EEEENSH_IJLi5EEEEEEENSH_IJLi3ELi5ELi4EEEElEENS3_INS4_IJNS5_IS6_SC_Lb0EEESD_SF_EEENS4_IJSI_SK_SJ_EEESP_SQ_lEENS3_INS4_IJSS_SF_SF_EEESU_NS4_IJSM_NSH_IJLi3EEEENSH_IJLi4EEEEEEESN_lEELi128ELi128ELi16ELi1ELi4ELi4ELi1ENSH_IJLi8ELi2EEEES11_NSH_IJLi2ELi1ELi4ELi1EEEENSH_IJLi8ELi1ELi32ELi1EEEENSH_IJLi0ELi3ELi1ELi2EEEES14_NSH_IJLi1ELi1ELi4ELi1EEEES14_S15_S12_S13_S14_S14_S15_S14_S15_NSH_IJLi0ELi1ELi2ELi3ELi4ELi5EEEELi5ELi4EEEffNS3_INS4_IJSA_SD_SF_SF_NSB_INS4_IJiNS7_IiLi128EEEEEELb0EEENSE_IS8_EEEEENS4_IJSI_SJ_SK_SX_SO_SY_EEENS4_IJSM_SN_SO_NSH_IJLi6EEEENSH_IJLi7ELi8EEEENSH_IJLi9EEEEEEENSH_IJLi6ELi7ELi8ELi9EEEElEENS3_INS4_IJSS_SD_SF_SF_S1A_S1B_EEENS4_IJSI_SK_SJ_SX_SO_SY_EEES1H_S1I_lEENS3_INS4_IJSS_SF_SF_NSB_INS4_IJiNS7_IiLi2EEENS7_IiLi64EEEEEELb0EEES1Q_EEENS4_IJSI_SK_SJ_SX_SY_EEENS4_IJSM_SX_SY_NSH_IJLi5ELi6ELi7EEEENSH_IJLi8ELi9ELi10EEEEEEENSH_IJLi5ELi6ELi7ELi8ELi9ELi10EEEElEENS_31BlockToCTileMap_M00_N00_M01_N01ILi128ELi128ES10_Lb0EEELb1ELb1EEEvPKT0_S22_PT1_T2_T3_T4_T5_
                                        ; -- End function
	.section	.AMDGPU.csdata,"",@progbits
; Kernel info:
; codeLenInByte = 700
; NumSgprs: 94
; NumVgprs: 212
; ScratchSize: 320
; MemoryBound: 0
; FloatMode: 240
; IeeeMode: 1
; LDSByteSize: 32768 bytes/workgroup (compile time only)
; SGPRBlocks: 11
; VGPRBlocks: 26
; NumSGPRsForWavesPerEU: 94
; NumVGPRsForWavesPerEU: 212
; Occupancy: 7
; WaveLimiterHint : 0
; COMPUTE_PGM_RSRC2:SCRATCH_EN: 1
; COMPUTE_PGM_RSRC2:USER_SGPR: 15
; COMPUTE_PGM_RSRC2:TRAP_HANDLER: 0
; COMPUTE_PGM_RSRC2:TGID_X_EN: 1
; COMPUTE_PGM_RSRC2:TGID_Y_EN: 0
; COMPUTE_PGM_RSRC2:TGID_Z_EN: 0
; COMPUTE_PGM_RSRC2:TIDIG_COMP_CNT: 0
	.text
	.p2align	2                               ; -- Begin function _ZN2ck28GridwiseGemmDl_km_kn_mn_v1r3ILi256EfffLNS_25InMemoryDataOperationEnumE0ENS_16TensorDescriptorINS_5TupleIJNS_5EmbedINS3_IJiiEEENS3_IJNS_17integral_constantIiLi1EEEiEEELb0EEENS_7UnMergeINS3_IJiS7_EEELb0EEENS_11PassThroughIiEEEEENS3_IJNS_8SequenceIJLi0EEEENSG_IJLi2EEEENSG_IJLi1EEEEEEENS3_IJNSG_IJLi1ELi2EEEENSG_IJLi3ELi4EEEENSG_IJLi5EEEEEEENSG_IJLi3ELi5ELi4EEEElEENS2_INS3_IJNS4_IS5_SB_Lb0EEESC_SE_EEENS3_IJSH_SJ_SI_EEESO_SP_lEENS2_INS3_IJSR_SE_SE_EEEST_NS3_IJSL_NSG_IJLi3EEEENSG_IJLi4EEEEEEESM_lEELi128ELi128ELi16ELi1ELi4ELi4ELi1ENSG_IJLi8ELi2EEEES10_NSG_IJLi2ELi1ELi4ELi1EEEENSG_IJLi8ELi1ELi32ELi1EEEENSG_IJLi0ELi3ELi1ELi2EEEES13_NSG_IJLi1ELi1ELi4ELi1EEEES13_S14_S11_S12_S13_S13_S14_S13_S14_NSG_IJLi0ELi1ELi2ELi3ELi4ELi5EEEELi5ELi4EE3RunILb1ELb0EEEvPKfS19_PfS1A_RKNS2_INS3_IJS9_SC_SE_SE_NSA_INS3_IJiNS6_IiLi128EEEEEELb0EEENSD_IS7_EEEEENS3_IJSH_SI_SJ_SW_SN_SX_EEENS3_IJSL_SM_SN_NSG_IJLi6EEEENSG_IJLi7ELi8EEEENSG_IJLi9EEEEEEENSG_IJLi6ELi7ELi8ELi9EEEElEERKNS2_INS3_IJSR_SC_SE_SE_S1D_S1E_EEENS3_IJSH_SJ_SI_SW_SN_SX_EEES1K_S1L_lEERKNS2_INS3_IJSR_SE_SE_NSA_INS3_IJiNS6_IiLi2EEENS6_IiLi64EEEEEELb0EEES1X_EEENS3_IJSH_SJ_SI_SW_SX_EEENS3_IJSL_SW_SX_NSG_IJLi5ELi6ELi7EEEENSG_IJLi8ELi9ELi10EEEEEEENSG_IJLi5ELi6ELi7ELi8ELi9ELi10EEEElEERKNS_31BlockToCTileMap_M00_N00_M01_N01ILi128ELi128ESZ_Lb0EEENS6_IbXT_EEENS6_IbXT0_EEE
	.type	_ZN2ck28GridwiseGemmDl_km_kn_mn_v1r3ILi256EfffLNS_25InMemoryDataOperationEnumE0ENS_16TensorDescriptorINS_5TupleIJNS_5EmbedINS3_IJiiEEENS3_IJNS_17integral_constantIiLi1EEEiEEELb0EEENS_7UnMergeINS3_IJiS7_EEELb0EEENS_11PassThroughIiEEEEENS3_IJNS_8SequenceIJLi0EEEENSG_IJLi2EEEENSG_IJLi1EEEEEEENS3_IJNSG_IJLi1ELi2EEEENSG_IJLi3ELi4EEEENSG_IJLi5EEEEEEENSG_IJLi3ELi5ELi4EEEElEENS2_INS3_IJNS4_IS5_SB_Lb0EEESC_SE_EEENS3_IJSH_SJ_SI_EEESO_SP_lEENS2_INS3_IJSR_SE_SE_EEEST_NS3_IJSL_NSG_IJLi3EEEENSG_IJLi4EEEEEEESM_lEELi128ELi128ELi16ELi1ELi4ELi4ELi1ENSG_IJLi8ELi2EEEES10_NSG_IJLi2ELi1ELi4ELi1EEEENSG_IJLi8ELi1ELi32ELi1EEEENSG_IJLi0ELi3ELi1ELi2EEEES13_NSG_IJLi1ELi1ELi4ELi1EEEES13_S14_S11_S12_S13_S13_S14_S13_S14_NSG_IJLi0ELi1ELi2ELi3ELi4ELi5EEEELi5ELi4EE3RunILb1ELb0EEEvPKfS19_PfS1A_RKNS2_INS3_IJS9_SC_SE_SE_NSA_INS3_IJiNS6_IiLi128EEEEEELb0EEENSD_IS7_EEEEENS3_IJSH_SI_SJ_SW_SN_SX_EEENS3_IJSL_SM_SN_NSG_IJLi6EEEENSG_IJLi7ELi8EEEENSG_IJLi9EEEEEEENSG_IJLi6ELi7ELi8ELi9EEEElEERKNS2_INS3_IJSR_SC_SE_SE_S1D_S1E_EEENS3_IJSH_SJ_SI_SW_SN_SX_EEES1K_S1L_lEERKNS2_INS3_IJSR_SE_SE_NSA_INS3_IJiNS6_IiLi2EEENS6_IiLi64EEEEEELb0EEES1X_EEENS3_IJSH_SJ_SI_SW_SX_EEENS3_IJSL_SW_SX_NSG_IJLi5ELi6ELi7EEEENSG_IJLi8ELi9ELi10EEEEEEENSG_IJLi5ELi6ELi7ELi8ELi9ELi10EEEElEERKNS_31BlockToCTileMap_M00_N00_M01_N01ILi128ELi128ESZ_Lb0EEENS6_IbXT_EEENS6_IbXT0_EEE,@function
_ZN2ck28GridwiseGemmDl_km_kn_mn_v1r3ILi256EfffLNS_25InMemoryDataOperationEnumE0ENS_16TensorDescriptorINS_5TupleIJNS_5EmbedINS3_IJiiEEENS3_IJNS_17integral_constantIiLi1EEEiEEELb0EEENS_7UnMergeINS3_IJiS7_EEELb0EEENS_11PassThroughIiEEEEENS3_IJNS_8SequenceIJLi0EEEENSG_IJLi2EEEENSG_IJLi1EEEEEEENS3_IJNSG_IJLi1ELi2EEEENSG_IJLi3ELi4EEEENSG_IJLi5EEEEEEENSG_IJLi3ELi5ELi4EEEElEENS2_INS3_IJNS4_IS5_SB_Lb0EEESC_SE_EEENS3_IJSH_SJ_SI_EEESO_SP_lEENS2_INS3_IJSR_SE_SE_EEEST_NS3_IJSL_NSG_IJLi3EEEENSG_IJLi4EEEEEEESM_lEELi128ELi128ELi16ELi1ELi4ELi4ELi1ENSG_IJLi8ELi2EEEES10_NSG_IJLi2ELi1ELi4ELi1EEEENSG_IJLi8ELi1ELi32ELi1EEEENSG_IJLi0ELi3ELi1ELi2EEEES13_NSG_IJLi1ELi1ELi4ELi1EEEES13_S14_S11_S12_S13_S13_S14_S13_S14_NSG_IJLi0ELi1ELi2ELi3ELi4ELi5EEEELi5ELi4EE3RunILb1ELb0EEEvPKfS19_PfS1A_RKNS2_INS3_IJS9_SC_SE_SE_NSA_INS3_IJiNS6_IiLi128EEEEEELb0EEENSD_IS7_EEEEENS3_IJSH_SI_SJ_SW_SN_SX_EEENS3_IJSL_SM_SN_NSG_IJLi6EEEENSG_IJLi7ELi8EEEENSG_IJLi9EEEEEEENSG_IJLi6ELi7ELi8ELi9EEEElEERKNS2_INS3_IJSR_SC_SE_SE_S1D_S1E_EEENS3_IJSH_SJ_SI_SW_SN_SX_EEES1K_S1L_lEERKNS2_INS3_IJSR_SE_SE_NSA_INS3_IJiNS6_IiLi2EEENS6_IiLi64EEEEEELb0EEES1X_EEENS3_IJSH_SJ_SI_SW_SX_EEENS3_IJSL_SW_SX_NSG_IJLi5ELi6ELi7EEEENSG_IJLi8ELi9ELi10EEEEEEENSG_IJLi5ELi6ELi7ELi8ELi9ELi10EEEElEERKNS_31BlockToCTileMap_M00_N00_M01_N01ILi128ELi128ESZ_Lb0EEENS6_IbXT_EEENS6_IbXT0_EEE: ; @_ZN2ck28GridwiseGemmDl_km_kn_mn_v1r3ILi256EfffLNS_25InMemoryDataOperationEnumE0ENS_16TensorDescriptorINS_5TupleIJNS_5EmbedINS3_IJiiEEENS3_IJNS_17integral_constantIiLi1EEEiEEELb0EEENS_7UnMergeINS3_IJiS7_EEELb0EEENS_11PassThroughIiEEEEENS3_IJNS_8SequenceIJLi0EEEENSG_IJLi2EEEENSG_IJLi1EEEEEEENS3_IJNSG_IJLi1ELi2EEEENSG_IJLi3ELi4EEEENSG_IJLi5EEEEEEENSG_IJLi3ELi5ELi4EEEElEENS2_INS3_IJNS4_IS5_SB_Lb0EEESC_SE_EEENS3_IJSH_SJ_SI_EEESO_SP_lEENS2_INS3_IJSR_SE_SE_EEEST_NS3_IJSL_NSG_IJLi3EEEENSG_IJLi4EEEEEEESM_lEELi128ELi128ELi16ELi1ELi4ELi4ELi1ENSG_IJLi8ELi2EEEES10_NSG_IJLi2ELi1ELi4ELi1EEEENSG_IJLi8ELi1ELi32ELi1EEEENSG_IJLi0ELi3ELi1ELi2EEEES13_NSG_IJLi1ELi1ELi4ELi1EEEES13_S14_S11_S12_S13_S13_S14_S13_S14_NSG_IJLi0ELi1ELi2ELi3ELi4ELi5EEEELi5ELi4EE3RunILb1ELb0EEEvPKfS19_PfS1A_RKNS2_INS3_IJS9_SC_SE_SE_NSA_INS3_IJiNS6_IiLi128EEEEEELb0EEENSD_IS7_EEEEENS3_IJSH_SI_SJ_SW_SN_SX_EEENS3_IJSL_SM_SN_NSG_IJLi6EEEENSG_IJLi7ELi8EEEENSG_IJLi9EEEEEEENSG_IJLi6ELi7ELi8ELi9EEEElEERKNS2_INS3_IJSR_SC_SE_SE_S1D_S1E_EEENS3_IJSH_SJ_SI_SW_SN_SX_EEES1K_S1L_lEERKNS2_INS3_IJSR_SE_SE_NSA_INS3_IJiNS6_IiLi2EEENS6_IiLi64EEEEEELb0EEES1X_EEENS3_IJSH_SJ_SI_SW_SX_EEENS3_IJSL_SW_SX_NSG_IJLi5ELi6ELi7EEEENSG_IJLi8ELi9ELi10EEEEEEENSG_IJLi5ELi6ELi7ELi8ELi9ELi10EEEElEERKNS_31BlockToCTileMap_M00_N00_M01_N01ILi128ELi128ESZ_Lb0EEENS6_IbXT_EEENS6_IbXT0_EEE
; %bb.0:
	s_waitcnt vmcnt(0) expcnt(0) lgkmcnt(0)
	s_clause 0x4
	flat_load_b128 v[14:17], v[12:13] offset:68
	flat_load_b128 v[21:24], v[12:13] offset:88
	;; [unrolled: 1-line block ×3, first 2 shown]
	flat_load_b32 v19, v[12:13] offset:20
	flat_load_b32 v25, v[12:13] offset:36
	;; [unrolled: 1-line block ×6, first 2 shown]
	flat_load_b64 v[148:149], v[10:11] offset:56
	s_mov_b32 s3, 0
	s_mov_b32 s8, exec_lo
	v_mov_b32_e32 v150, 0x31004000
	s_waitcnt vmcnt(9) lgkmcnt(9)
	v_mul_hi_u32 v12, v17, s12
	s_waitcnt vmcnt(0) lgkmcnt(0)
	v_lshlrev_b32_e32 v149, 2, v32
	s_delay_alu instid0(VALU_DEP_2) | instskip(NEXT) | instid1(VALU_DEP_1)
	v_add_nc_u32_e32 v12, s12, v12
	v_lshrrev_b32_e32 v12, v24, v12
	s_delay_alu instid0(VALU_DEP_1) | instskip(SKIP_1) | instid1(VALU_DEP_2)
	v_mul_hi_u32 v13, v12, v16
	v_mul_lo_u32 v17, v12, v30
	v_add_nc_u32_e32 v13, v12, v13
	s_delay_alu instid0(VALU_DEP_1) | instskip(SKIP_1) | instid1(VALU_DEP_2)
	v_lshrrev_b32_e32 v16, v23, v13
	v_and_b32_e32 v23, 0x3ff, v31
	v_mul_hi_u32 v13, v16, v15
	v_mul_lo_u32 v15, v16, v29
	s_delay_alu instid0(VALU_DEP_2) | instskip(NEXT) | instid1(VALU_DEP_2)
	v_add_nc_u32_e32 v13, v16, v13
	v_sub_nc_u32_e32 v12, v12, v15
	s_delay_alu instid0(VALU_DEP_2) | instskip(NEXT) | instid1(VALU_DEP_1)
	v_lshrrev_b32_e32 v13, v22, v13
	v_mul_hi_u32 v14, v13, v14
	s_delay_alu instid0(VALU_DEP_1) | instskip(NEXT) | instid1(VALU_DEP_1)
	v_add_nc_u32_e32 v14, v13, v14
	v_lshrrev_b32_e32 v14, v21, v14
	v_mul_lo_u32 v21, v13, v28
	s_delay_alu instid0(VALU_DEP_2) | instskip(NEXT) | instid1(VALU_DEP_1)
	v_mul_lo_u32 v14, v14, v27
	v_sub_nc_u32_e32 v22, v13, v14
	v_sub_nc_u32_e32 v13, s12, v17
	s_delay_alu instid0(VALU_DEP_4) | instskip(SKIP_1) | instid1(VALU_DEP_3)
	v_sub_nc_u32_e32 v17, v16, v21
	v_lshrrev_b32_e32 v21, 5, v23
	v_mad_u64_u32 v[14:15], null, v22, v19, v[12:13]
	v_lshlrev_b32_e32 v19, 2, v23
	v_lshrrev_b32_e32 v12, 4, v23
	s_delay_alu instid0(VALU_DEP_2) | instskip(NEXT) | instid1(VALU_DEP_4)
	v_and_b32_e32 v29, 0x7c, v19
	v_mad_u64_u32 v[15:16], null, v17, v25, v[13:14]
	v_readfirstlane_b32 s0, v14
	v_lshlrev_b32_e32 v13, 1, v23
	v_and_b32_e32 v28, 14, v12
	v_lshlrev_b32_e32 v14, 6, v21
	s_delay_alu instid0(VALU_DEP_4) | instskip(SKIP_4) | instid1(VALU_DEP_4)
	s_lshl_b32 s1, s0, 7
	v_readfirstlane_b32 s2, v15
	v_and_b32_e32 v15, 0x1f8, v13
	v_and_b32_e32 v22, 0x1fc, v13
	v_or_b32_e32 v12, s1, v29
	s_lshl_b32 s2, s2, 7
	s_delay_alu instid0(VALU_DEP_3) | instskip(SKIP_1) | instid1(VALU_DEP_2)
	v_sub_nc_u32_e32 v14, v15, v14
	v_or_b32_e32 v13, s2, v29
	v_and_or_b32 v151, v19, 4, v14
	s_delay_alu instid0(VALU_DEP_2) | instskip(SKIP_2) | instid1(VALU_DEP_2)
	v_mad_u64_u32 v[16:17], null, v18, v28, v[12:13]
	v_sub_nc_u32_e32 v12, v22, v15
	v_mad_u64_u32 v[24:25], null, v26, v28, v[13:14]
	v_lshl_add_u32 v164, v21, 3, v12
	s_delay_alu instid0(VALU_DEP_4)
	v_lshlrev_b32_e32 v17, 2, v16
.LBB3_1:                                ; =>This Inner Loop Header: Depth=1
	v_readfirstlane_b32 s4, v0
	v_readfirstlane_b32 s5, v1
	;; [unrolled: 1-line block ×4, first 2 shown]
	s_delay_alu instid0(VALU_DEP_3) | instskip(NEXT) | instid1(VALU_DEP_2)
	v_cmp_eq_u64_e32 vcc_lo, s[4:5], v[0:1]
	v_cmp_eq_u64_e64 s0, s[6:7], v[149:150]
	s_delay_alu instid0(VALU_DEP_1) | instskip(NEXT) | instid1(SALU_CYCLE_1)
	s_and_b32 s0, vcc_lo, s0
	s_and_saveexec_b32 s0, s0
	buffer_load_b128 v[12:15], v17, s[4:7], 0 offen
                                        ; implicit-def: $vgpr17
	s_xor_b32 exec_lo, exec_lo, s0
	s_cbranch_execnz .LBB3_1
; %bb.2:
	s_mov_b32 exec_lo, s8
	v_add_nc_u32_e32 v162, v16, v18
	s_mov_b32 s8, exec_lo
	s_delay_alu instid0(VALU_DEP_1)
	v_lshlrev_b32_e32 v21, 2, v162
.LBB3_3:                                ; =>This Inner Loop Header: Depth=1
	v_readfirstlane_b32 s4, v0
	v_readfirstlane_b32 s5, v1
	;; [unrolled: 1-line block ×4, first 2 shown]
	s_delay_alu instid0(VALU_DEP_3) | instskip(NEXT) | instid1(VALU_DEP_2)
	v_cmp_eq_u64_e32 vcc_lo, s[4:5], v[0:1]
	v_cmp_eq_u64_e64 s0, s[6:7], v[149:150]
	s_delay_alu instid0(VALU_DEP_1) | instskip(NEXT) | instid1(SALU_CYCLE_1)
	s_and_b32 s0, vcc_lo, s0
	s_and_saveexec_b32 s0, s0
	buffer_load_b128 v[16:19], v21, s[4:7], 0 offen
                                        ; implicit-def: $vgpr21
	s_xor_b32 exec_lo, exec_lo, s0
	s_cbranch_execnz .LBB3_3
; %bb.4:
	s_mov_b32 exec_lo, s8
	v_dual_mov_b32 v161, 0x31004000 :: v_dual_lshlrev_b32 v160, 2, v20
	v_lshlrev_b32_e32 v25, 2, v24
	s_mov_b32 s8, exec_lo
.LBB3_5:                                ; =>This Inner Loop Header: Depth=1
	v_readfirstlane_b32 s4, v2
	v_readfirstlane_b32 s5, v3
	v_readfirstlane_b32 s6, v160
	v_readfirstlane_b32 s7, v161
	s_delay_alu instid0(VALU_DEP_3) | instskip(NEXT) | instid1(VALU_DEP_2)
	v_cmp_eq_u64_e32 vcc_lo, s[4:5], v[2:3]
	v_cmp_eq_u64_e64 s0, s[6:7], v[160:161]
	s_delay_alu instid0(VALU_DEP_1) | instskip(NEXT) | instid1(SALU_CYCLE_1)
	s_and_b32 s0, vcc_lo, s0
	s_and_saveexec_b32 s0, s0
	buffer_load_b128 v[20:23], v25, s[4:7], 0 offen
                                        ; implicit-def: $vgpr25
	s_xor_b32 exec_lo, exec_lo, s0
	s_cbranch_execnz .LBB3_5
; %bb.6:
	s_mov_b32 exec_lo, s8
	v_add_nc_u32_e32 v163, v24, v26
	s_mov_b32 s8, exec_lo
	s_delay_alu instid0(VALU_DEP_1)
	v_lshlrev_b32_e32 v30, 2, v163
.LBB3_7:                                ; =>This Inner Loop Header: Depth=1
	v_readfirstlane_b32 s4, v2
	v_readfirstlane_b32 s5, v3
	;; [unrolled: 1-line block ×4, first 2 shown]
	s_delay_alu instid0(VALU_DEP_3) | instskip(NEXT) | instid1(VALU_DEP_2)
	v_cmp_eq_u64_e32 vcc_lo, s[4:5], v[2:3]
	v_cmp_eq_u64_e64 s0, s[6:7], v[160:161]
	s_delay_alu instid0(VALU_DEP_1) | instskip(NEXT) | instid1(SALU_CYCLE_1)
	s_and_b32 s0, vcc_lo, s0
	s_and_saveexec_b32 s0, s0
	buffer_load_b128 v[24:27], v30, s[4:7], 0 offen
                                        ; implicit-def: $vgpr30
	s_xor_b32 exec_lo, exec_lo, s0
	s_cbranch_execnz .LBB3_7
; %bb.8:
	s_mov_b32 exec_lo, s8
	v_dual_mov_b32 v112, 0 :: v_dual_lshlrev_b32 v29, 2, v29
	v_dual_mov_b32 v114, 0 :: v_dual_lshlrev_b32 v165, 2, v164
	;; [unrolled: 1-line block ×3, first 2 shown]
	s_delay_alu instid0(VALU_DEP_3)
	v_lshl_or_b32 v167, v28, 9, v29
	v_dual_mov_b32 v115, 0 :: v_dual_mov_b32 v100, 0
	v_dual_mov_b32 v101, 0 :: v_dual_mov_b32 v102, 0
	s_waitcnt vmcnt(3)
	ds_store_b128 v167, v[12:15]
	s_waitcnt vmcnt(2)
	ds_store_b128 v167, v[16:19] offset:512
	s_waitcnt vmcnt(1)
	ds_store_b128 v167, v[20:23] offset:16384
	;; [unrolled: 2-line block ×3, first 2 shown]
	flat_load_b32 v39, v[6:7] offset:32
	v_dual_mov_b32 v103, 0 :: v_dual_mov_b32 v84, 0
	v_dual_mov_b32 v85, 0 :: v_dual_mov_b32 v86, 0
	;; [unrolled: 1-line block ×28, first 2 shown]
	v_or_b32_e32 v176, 0x4000, v167
	v_or_b32_e32 v177, 0x2000, v167
	;; [unrolled: 1-line block ×3, first 2 shown]
	s_mov_b32 s8, 0
	s_waitcnt vmcnt(0) lgkmcnt(0)
	v_subrev_nc_u32_e32 v179, 32, v39
	v_mov_b32_e32 v39, 0
.LBB3_9:                                ; =>This Loop Header: Depth=1
                                        ;     Child Loop BB3_10 Depth 2
                                        ;     Child Loop BB3_12 Depth 2
                                        ;     Child Loop BB3_14 Depth 2
                                        ;     Child Loop BB3_16 Depth 2
                                        ;     Child Loop BB3_18 Depth 2
                                        ;     Child Loop BB3_20 Depth 2
                                        ;     Child Loop BB3_22 Depth 2
                                        ;     Child Loop BB3_24 Depth 2
	flat_load_b32 v130, v[6:7] offset:12
	flat_load_b32 v146, v[8:9] offset:8
	s_mov_b32 s9, exec_lo
	s_waitcnt vmcnt(1) lgkmcnt(1)
	v_mad_u64_u32 v[128:129], null, v130, 15, v[162:163]
	s_waitcnt vmcnt(0) lgkmcnt(0)
	v_mad_u64_u32 v[144:145], null, v146, 15, v[163:164]
	s_delay_alu instid0(VALU_DEP_2)
	v_lshlrev_b32_e32 v129, 2, v128
.LBB3_10:                               ;   Parent Loop BB3_9 Depth=1
                                        ; =>  This Inner Loop Header: Depth=2
	v_readfirstlane_b32 s4, v0
	v_readfirstlane_b32 s5, v1
	;; [unrolled: 1-line block ×4, first 2 shown]
	s_delay_alu instid0(VALU_DEP_3) | instskip(NEXT) | instid1(VALU_DEP_2)
	v_cmp_eq_u64_e32 vcc_lo, s[4:5], v[0:1]
	v_cmp_eq_u64_e64 s0, s[6:7], v[149:150]
	s_delay_alu instid0(VALU_DEP_1) | instskip(NEXT) | instid1(SALU_CYCLE_1)
	s_and_b32 s0, vcc_lo, s0
	s_and_saveexec_b32 s0, s0
	buffer_load_b128 v[116:119], v129, s[4:7], 0 offen
                                        ; implicit-def: $vgpr129
	s_xor_b32 exec_lo, exec_lo, s0
	s_cbranch_execnz .LBB3_10
; %bb.11:                               ;   in Loop: Header=BB3_9 Depth=1
	s_mov_b32 exec_lo, s9
	v_add_nc_u32_e32 v162, v130, v128
	s_mov_b32 s9, exec_lo
	s_delay_alu instid0(VALU_DEP_1)
	v_lshlrev_b32_e32 v132, 2, v162
.LBB3_12:                               ;   Parent Loop BB3_9 Depth=1
                                        ; =>  This Inner Loop Header: Depth=2
	v_readfirstlane_b32 s4, v0
	v_readfirstlane_b32 s5, v1
	;; [unrolled: 1-line block ×4, first 2 shown]
	s_delay_alu instid0(VALU_DEP_3) | instskip(NEXT) | instid1(VALU_DEP_2)
	v_cmp_eq_u64_e32 vcc_lo, s[4:5], v[0:1]
	v_cmp_eq_u64_e64 s0, s[6:7], v[149:150]
	s_delay_alu instid0(VALU_DEP_1) | instskip(NEXT) | instid1(SALU_CYCLE_1)
	s_and_b32 s0, vcc_lo, s0
	s_and_saveexec_b32 s0, s0
	buffer_load_b128 v[128:131], v132, s[4:7], 0 offen
                                        ; implicit-def: $vgpr132
	s_xor_b32 exec_lo, exec_lo, s0
	s_cbranch_execnz .LBB3_12
; %bb.13:                               ;   in Loop: Header=BB3_9 Depth=1
	s_mov_b32 exec_lo, s9
	v_lshlrev_b32_e32 v145, 2, v144
	s_mov_b32 s9, exec_lo
.LBB3_14:                               ;   Parent Loop BB3_9 Depth=1
                                        ; =>  This Inner Loop Header: Depth=2
	v_readfirstlane_b32 s4, v2
	v_readfirstlane_b32 s5, v3
	;; [unrolled: 1-line block ×4, first 2 shown]
	s_delay_alu instid0(VALU_DEP_3) | instskip(NEXT) | instid1(VALU_DEP_2)
	v_cmp_eq_u64_e32 vcc_lo, s[4:5], v[2:3]
	v_cmp_eq_u64_e64 s0, s[6:7], v[160:161]
	s_delay_alu instid0(VALU_DEP_1) | instskip(NEXT) | instid1(SALU_CYCLE_1)
	s_and_b32 s0, vcc_lo, s0
	s_and_saveexec_b32 s0, s0
	buffer_load_b128 v[132:135], v145, s[4:7], 0 offen
                                        ; implicit-def: $vgpr145
	s_xor_b32 exec_lo, exec_lo, s0
	s_cbranch_execnz .LBB3_14
; %bb.15:                               ;   in Loop: Header=BB3_9 Depth=1
	s_mov_b32 exec_lo, s9
	v_add_nc_u32_e32 v163, v146, v144
	s_mov_b32 s9, exec_lo
	s_delay_alu instid0(VALU_DEP_1)
	v_lshlrev_b32_e32 v180, 2, v163
.LBB3_16:                               ;   Parent Loop BB3_9 Depth=1
                                        ; =>  This Inner Loop Header: Depth=2
	v_readfirstlane_b32 s4, v2
	v_readfirstlane_b32 s5, v3
	;; [unrolled: 1-line block ×4, first 2 shown]
	s_delay_alu instid0(VALU_DEP_3) | instskip(NEXT) | instid1(VALU_DEP_2)
	v_cmp_eq_u64_e32 vcc_lo, s[4:5], v[2:3]
	v_cmp_eq_u64_e64 s0, s[6:7], v[160:161]
	s_delay_alu instid0(VALU_DEP_1) | instskip(NEXT) | instid1(SALU_CYCLE_1)
	s_and_b32 s0, vcc_lo, s0
	s_and_saveexec_b32 s0, s0
	buffer_load_b128 v[144:147], v180, s[4:7], 0 offen
                                        ; implicit-def: $vgpr180
	s_xor_b32 exec_lo, exec_lo, s0
	s_cbranch_execnz .LBB3_16
; %bb.17:                               ;   in Loop: Header=BB3_9 Depth=1
	s_mov_b32 exec_lo, s9
	s_waitcnt vmcnt(0) lgkmcnt(0)
	s_waitcnt_vscnt null, 0x0
	s_barrier
	ds_load_b128 v[180:183], v165
	ds_load_b128 v[192:195], v166 offset:16384
	ds_load_b128 v[196:199], v166 offset:16640
	;; [unrolled: 1-line block ×3, first 2 shown]
	s_mov_b32 s9, exec_lo
	s_waitcnt lgkmcnt(2)
	;;#ASMSTART
	
             v_fmac_f32 v112, v180, v192 
             
	;;#ASMEND
	;;#ASMSTART
	
             v_fmac_f32 v113, v180, v193 
             
	;;#ASMEND
	;; [unrolled: 5-line block ×16, first 2 shown]
	s_waitcnt lgkmcnt(1)
	;;#ASMSTART
	
             v_fmac_f32 v100, v180, v196 
             
	;;#ASMEND
	;;#ASMSTART
	
             v_fmac_f32 v101, v180, v197 
             
	;;#ASMEND
	;;#ASMSTART
	
             v_fmac_f32 v102, v180, v198 
             
	;;#ASMEND
	;;#ASMSTART
	
             v_fmac_f32 v103, v180, v199 
             
	;;#ASMEND
	;;#ASMSTART
	
             v_fmac_f32 v96, v181, v196 
             
	;;#ASMEND
	;;#ASMSTART
	
             v_fmac_f32 v97, v181, v197 
             
	;;#ASMEND
	;;#ASMSTART
	
             v_fmac_f32 v98, v181, v198 
             
	;;#ASMEND
	;;#ASMSTART
	
             v_fmac_f32 v99, v181, v199 
             
	;;#ASMEND
	;;#ASMSTART
	
             v_fmac_f32 v68, v182, v196 
             
	;;#ASMEND
	;;#ASMSTART
	
             v_fmac_f32 v69, v182, v197 
             
	;;#ASMEND
	;;#ASMSTART
	
             v_fmac_f32 v70, v182, v198 
             
	;;#ASMEND
	;;#ASMSTART
	
             v_fmac_f32 v71, v182, v199 
             
	;;#ASMEND
	;;#ASMSTART
	
             v_fmac_f32 v64, v183, v196 
             
	;;#ASMEND
	;;#ASMSTART
	
             v_fmac_f32 v65, v183, v197 
             
	;;#ASMEND
	;;#ASMSTART
	
             v_fmac_f32 v66, v183, v198 
             
	;;#ASMEND
	;;#ASMSTART
	
             v_fmac_f32 v67, v183, v199 
             
	;;#ASMEND
	ds_load_b128 v[180:183], v165 offset:512
	s_waitcnt lgkmcnt(1)
	;;#ASMSTART
	
             v_fmac_f32 v12, v208, v192 
             
	;;#ASMEND
	;;#ASMSTART
	
             v_fmac_f32 v13, v208, v193 
             
	;;#ASMEND
	;; [unrolled: 5-line block ×16, first 2 shown]
	ds_load_b128 v[192:195], v166 offset:16896
	;;#ASMSTART
	
             v_fmac_f32 v16, v208, v196 
             
	;;#ASMEND
	;;#ASMSTART
	
             v_fmac_f32 v17, v208, v197 
             
	;;#ASMEND
	;; [unrolled: 5-line block ×16, first 2 shown]
	ds_load_b128 v[196:199], v166 offset:17152
	ds_load_b128 v[208:211], v165 offset:768
	s_waitcnt lgkmcnt(2)
	;;#ASMSTART
	
             v_fmac_f32 v112, v180, v192 
             
	;;#ASMEND
	;;#ASMSTART
	
             v_fmac_f32 v113, v180, v193 
             
	;;#ASMEND
	;; [unrolled: 5-line block ×16, first 2 shown]
	s_waitcnt lgkmcnt(1)
	;;#ASMSTART
	
             v_fmac_f32 v100, v180, v196 
             
	;;#ASMEND
	;;#ASMSTART
	
             v_fmac_f32 v101, v180, v197 
             
	;;#ASMEND
	;; [unrolled: 5-line block ×16, first 2 shown]
	ds_load_b128 v[180:183], v165 offset:1024
	s_waitcnt lgkmcnt(1)
	;;#ASMSTART
	
             v_fmac_f32 v12, v208, v192 
             
	;;#ASMEND
	;;#ASMSTART
	
             v_fmac_f32 v13, v208, v193 
             
	;;#ASMEND
	;; [unrolled: 5-line block ×16, first 2 shown]
	ds_load_b128 v[192:195], v166 offset:17408
	;;#ASMSTART
	
             v_fmac_f32 v16, v208, v196 
             
	;;#ASMEND
	;;#ASMSTART
	
             v_fmac_f32 v17, v208, v197 
             
	;;#ASMEND
	;; [unrolled: 5-line block ×16, first 2 shown]
	ds_load_b128 v[196:199], v166 offset:17664
	ds_load_b128 v[208:211], v165 offset:1280
	s_waitcnt lgkmcnt(2)
	;;#ASMSTART
	
             v_fmac_f32 v112, v180, v192 
             
	;;#ASMEND
	;;#ASMSTART
	
             v_fmac_f32 v113, v180, v193 
             
	;;#ASMEND
	;; [unrolled: 5-line block ×16, first 2 shown]
	s_waitcnt lgkmcnt(1)
	;;#ASMSTART
	
             v_fmac_f32 v100, v180, v196 
             
	;;#ASMEND
	;;#ASMSTART
	
             v_fmac_f32 v101, v180, v197 
             
	;;#ASMEND
	;; [unrolled: 5-line block ×16, first 2 shown]
	ds_load_b128 v[180:183], v165 offset:1536
	s_waitcnt lgkmcnt(1)
	;;#ASMSTART
	
             v_fmac_f32 v12, v208, v192 
             
	;;#ASMEND
	;;#ASMSTART
	
             v_fmac_f32 v13, v208, v193 
             
	;;#ASMEND
	;; [unrolled: 5-line block ×16, first 2 shown]
	ds_load_b128 v[192:195], v166 offset:17920
	;;#ASMSTART
	
             v_fmac_f32 v16, v208, v196 
             
	;;#ASMEND
	;;#ASMSTART
	
             v_fmac_f32 v17, v208, v197 
             
	;;#ASMEND
	;; [unrolled: 5-line block ×16, first 2 shown]
	ds_load_b128 v[196:199], v166 offset:18176
	ds_load_b128 v[208:211], v165 offset:1792
	s_waitcnt lgkmcnt(2)
	;;#ASMSTART
	
             v_fmac_f32 v112, v180, v192 
             
	;;#ASMEND
	;;#ASMSTART
	
             v_fmac_f32 v113, v180, v193 
             
	;;#ASMEND
	;; [unrolled: 5-line block ×16, first 2 shown]
	s_waitcnt lgkmcnt(1)
	;;#ASMSTART
	
             v_fmac_f32 v100, v180, v196 
             
	;;#ASMEND
	;;#ASMSTART
	
             v_fmac_f32 v101, v180, v197 
             
	;;#ASMEND
	;; [unrolled: 5-line block ×16, first 2 shown]
	ds_load_b128 v[180:183], v165 offset:2048
	s_waitcnt lgkmcnt(1)
	;;#ASMSTART
	
             v_fmac_f32 v12, v208, v192 
             
	;;#ASMEND
	;;#ASMSTART
	
             v_fmac_f32 v13, v208, v193 
             
	;;#ASMEND
	;; [unrolled: 5-line block ×16, first 2 shown]
	ds_load_b128 v[192:195], v166 offset:18432
	;;#ASMSTART
	
             v_fmac_f32 v16, v208, v196 
             
	;;#ASMEND
	;;#ASMSTART
	
             v_fmac_f32 v17, v208, v197 
             
	;;#ASMEND
	;; [unrolled: 5-line block ×16, first 2 shown]
	ds_load_b128 v[196:199], v166 offset:18688
	ds_load_b128 v[208:211], v165 offset:2304
	s_waitcnt lgkmcnt(2)
	;;#ASMSTART
	
             v_fmac_f32 v112, v180, v192 
             
	;;#ASMEND
	;;#ASMSTART
	
             v_fmac_f32 v113, v180, v193 
             
	;;#ASMEND
	;; [unrolled: 5-line block ×16, first 2 shown]
	s_waitcnt lgkmcnt(1)
	;;#ASMSTART
	
             v_fmac_f32 v100, v180, v196 
             
	;;#ASMEND
	;;#ASMSTART
	
             v_fmac_f32 v101, v180, v197 
             
	;;#ASMEND
	;; [unrolled: 5-line block ×16, first 2 shown]
	ds_load_b128 v[180:183], v165 offset:2560
	s_waitcnt lgkmcnt(1)
	;;#ASMSTART
	
             v_fmac_f32 v12, v208, v192 
             
	;;#ASMEND
	;;#ASMSTART
	
             v_fmac_f32 v13, v208, v193 
             
	;;#ASMEND
	;; [unrolled: 5-line block ×16, first 2 shown]
	ds_load_b128 v[192:195], v166 offset:18944
	;;#ASMSTART
	
             v_fmac_f32 v16, v208, v196 
             
	;;#ASMEND
	;;#ASMSTART
	
             v_fmac_f32 v17, v208, v197 
             
	;;#ASMEND
	;;#ASMSTART
	
             v_fmac_f32 v18, v208, v198 
             
	;;#ASMEND
	;;#ASMSTART
	
             v_fmac_f32 v19, v208, v199 
             
	;;#ASMEND
	;;#ASMSTART
	
             v_fmac_f32 v20, v209, v196 
             
	;;#ASMEND
	;;#ASMSTART
	
             v_fmac_f32 v21, v209, v197 
             
	;;#ASMEND
	;;#ASMSTART
	
             v_fmac_f32 v22, v209, v198 
             
	;;#ASMEND
	;;#ASMSTART
	
             v_fmac_f32 v23, v209, v199 
             
	;;#ASMEND
	;;#ASMSTART
	
             v_fmac_f32 v32, v210, v196 
             
	;;#ASMEND
	;;#ASMSTART
	
             v_fmac_f32 v33, v210, v197 
             
	;;#ASMEND
	;;#ASMSTART
	
             v_fmac_f32 v34, v210, v198 
             
	;;#ASMEND
	;;#ASMSTART
	
             v_fmac_f32 v35, v210, v199 
             
	;;#ASMEND
	;;#ASMSTART
	
             v_fmac_f32 v36, v211, v196 
             
	;;#ASMEND
	;;#ASMSTART
	
             v_fmac_f32 v37, v211, v197 
             
	;;#ASMEND
	;;#ASMSTART
	
             v_fmac_f32 v38, v211, v198 
             
	;;#ASMEND
	;;#ASMSTART
	
             v_fmac_f32 v39, v211, v199 
             
	;;#ASMEND
	ds_load_b128 v[196:199], v166 offset:19200
	ds_load_b128 v[208:211], v165 offset:2816
	s_waitcnt lgkmcnt(2)
	;;#ASMSTART
	
             v_fmac_f32 v112, v180, v192 
             
	;;#ASMEND
	;;#ASMSTART
	
             v_fmac_f32 v113, v180, v193 
             
	;;#ASMEND
	;; [unrolled: 5-line block ×16, first 2 shown]
	s_waitcnt lgkmcnt(1)
	;;#ASMSTART
	
             v_fmac_f32 v100, v180, v196 
             
	;;#ASMEND
	;;#ASMSTART
	
             v_fmac_f32 v101, v180, v197 
             
	;;#ASMEND
	;; [unrolled: 5-line block ×16, first 2 shown]
	ds_load_b128 v[180:183], v165 offset:3072
	s_waitcnt lgkmcnt(1)
	;;#ASMSTART
	
             v_fmac_f32 v12, v208, v192 
             
	;;#ASMEND
	;;#ASMSTART
	
             v_fmac_f32 v13, v208, v193 
             
	;;#ASMEND
	;; [unrolled: 5-line block ×16, first 2 shown]
	ds_load_b128 v[192:195], v166 offset:19456
	;;#ASMSTART
	
             v_fmac_f32 v16, v208, v196 
             
	;;#ASMEND
	;;#ASMSTART
	
             v_fmac_f32 v17, v208, v197 
             
	;;#ASMEND
	;; [unrolled: 5-line block ×16, first 2 shown]
	ds_load_b128 v[196:199], v166 offset:19712
	ds_load_b128 v[208:211], v165 offset:3328
	s_waitcnt lgkmcnt(2)
	;;#ASMSTART
	
             v_fmac_f32 v112, v180, v192 
             
	;;#ASMEND
	;;#ASMSTART
	
             v_fmac_f32 v113, v180, v193 
             
	;;#ASMEND
	;; [unrolled: 5-line block ×16, first 2 shown]
	s_waitcnt lgkmcnt(1)
	;;#ASMSTART
	
             v_fmac_f32 v100, v180, v196 
             
	;;#ASMEND
	;;#ASMSTART
	
             v_fmac_f32 v101, v180, v197 
             
	;;#ASMEND
	;; [unrolled: 5-line block ×16, first 2 shown]
	ds_load_b128 v[180:183], v165 offset:3584
	s_waitcnt lgkmcnt(1)
	;;#ASMSTART
	
             v_fmac_f32 v12, v208, v192 
             
	;;#ASMEND
	;;#ASMSTART
	
             v_fmac_f32 v13, v208, v193 
             
	;;#ASMEND
	;;#ASMSTART
	
             v_fmac_f32 v14, v208, v194 
             
	;;#ASMEND
	;;#ASMSTART
	
             v_fmac_f32 v15, v208, v195 
             
	;;#ASMEND
	;;#ASMSTART
	
             v_fmac_f32 v24, v209, v192 
             
	;;#ASMEND
	;;#ASMSTART
	
             v_fmac_f32 v25, v209, v193 
             
	;;#ASMEND
	;;#ASMSTART
	
             v_fmac_f32 v26, v209, v194 
             
	;;#ASMEND
	;;#ASMSTART
	
             v_fmac_f32 v27, v209, v195 
             
	;;#ASMEND
	;;#ASMSTART
	
             v_fmac_f32 v28, v210, v192 
             
	;;#ASMEND
	;;#ASMSTART
	
             v_fmac_f32 v29, v210, v193 
             
	;;#ASMEND
	;;#ASMSTART
	
             v_fmac_f32 v30, v210, v194 
             
	;;#ASMEND
	;;#ASMSTART
	
             v_fmac_f32 v31, v210, v195 
             
	;;#ASMEND
	;;#ASMSTART
	
             v_fmac_f32 v48, v211, v192 
             
	;;#ASMEND
	;;#ASMSTART
	
             v_fmac_f32 v49, v211, v193 
             
	;;#ASMEND
	;;#ASMSTART
	
             v_fmac_f32 v50, v211, v194 
             
	;;#ASMEND
	;;#ASMSTART
	
             v_fmac_f32 v51, v211, v195 
             
	;;#ASMEND
	ds_load_b128 v[192:195], v166 offset:19968
	;;#ASMSTART
	
             v_fmac_f32 v16, v208, v196 
             
	;;#ASMEND
	;;#ASMSTART
	
             v_fmac_f32 v17, v208, v197 
             
	;;#ASMEND
	;; [unrolled: 5-line block ×16, first 2 shown]
	ds_load_b128 v[196:199], v166 offset:20224
	ds_load_b128 v[208:211], v165 offset:3840
	s_waitcnt lgkmcnt(2)
	;;#ASMSTART
	
             v_fmac_f32 v112, v180, v192 
             
	;;#ASMEND
	;;#ASMSTART
	
             v_fmac_f32 v113, v180, v193 
             
	;;#ASMEND
	;; [unrolled: 5-line block ×16, first 2 shown]
	s_waitcnt lgkmcnt(1)
	;;#ASMSTART
	
             v_fmac_f32 v100, v180, v196 
             
	;;#ASMEND
	;;#ASMSTART
	
             v_fmac_f32 v101, v180, v197 
             
	;;#ASMEND
	;;#ASMSTART
	
             v_fmac_f32 v102, v180, v198 
             
	;;#ASMEND
	;;#ASMSTART
	
             v_fmac_f32 v103, v180, v199 
             
	;;#ASMEND
	;;#ASMSTART
	
             v_fmac_f32 v96, v181, v196 
             
	;;#ASMEND
	;;#ASMSTART
	
             v_fmac_f32 v97, v181, v197 
             
	;;#ASMEND
	;;#ASMSTART
	
             v_fmac_f32 v98, v181, v198 
             
	;;#ASMEND
	;;#ASMSTART
	
             v_fmac_f32 v99, v181, v199 
             
	;;#ASMEND
	;;#ASMSTART
	
             v_fmac_f32 v68, v182, v196 
             
	;;#ASMEND
	;;#ASMSTART
	
             v_fmac_f32 v69, v182, v197 
             
	;;#ASMEND
	;;#ASMSTART
	
             v_fmac_f32 v70, v182, v198 
             
	;;#ASMEND
	;;#ASMSTART
	
             v_fmac_f32 v71, v182, v199 
             
	;;#ASMEND
	;;#ASMSTART
	
             v_fmac_f32 v64, v183, v196 
             
	;;#ASMEND
	;;#ASMSTART
	
             v_fmac_f32 v65, v183, v197 
             
	;;#ASMEND
	;;#ASMSTART
	
             v_fmac_f32 v66, v183, v198 
             
	;;#ASMEND
	;;#ASMSTART
	
             v_fmac_f32 v67, v183, v199 
             
	;;#ASMEND
	ds_load_b128 v[180:183], v165 offset:4096
	s_waitcnt lgkmcnt(1)
	;;#ASMSTART
	
             v_fmac_f32 v12, v208, v192 
             
	;;#ASMEND
	;;#ASMSTART
	
             v_fmac_f32 v13, v208, v193 
             
	;;#ASMEND
	;; [unrolled: 5-line block ×16, first 2 shown]
	ds_load_b128 v[192:195], v166 offset:20480
	;;#ASMSTART
	
             v_fmac_f32 v16, v208, v196 
             
	;;#ASMEND
	;;#ASMSTART
	
             v_fmac_f32 v17, v208, v197 
             
	;;#ASMEND
	;; [unrolled: 5-line block ×16, first 2 shown]
	ds_load_b128 v[196:199], v166 offset:20736
	ds_load_b128 v[208:211], v165 offset:4352
	s_waitcnt lgkmcnt(2)
	;;#ASMSTART
	
             v_fmac_f32 v112, v180, v192 
             
	;;#ASMEND
	;;#ASMSTART
	
             v_fmac_f32 v113, v180, v193 
             
	;;#ASMEND
	;; [unrolled: 5-line block ×16, first 2 shown]
	s_waitcnt lgkmcnt(1)
	;;#ASMSTART
	
             v_fmac_f32 v100, v180, v196 
             
	;;#ASMEND
	;;#ASMSTART
	
             v_fmac_f32 v101, v180, v197 
             
	;;#ASMEND
	;; [unrolled: 5-line block ×16, first 2 shown]
	ds_load_b128 v[180:183], v165 offset:4608
	s_waitcnt lgkmcnt(1)
	;;#ASMSTART
	
             v_fmac_f32 v12, v208, v192 
             
	;;#ASMEND
	;;#ASMSTART
	
             v_fmac_f32 v13, v208, v193 
             
	;;#ASMEND
	;; [unrolled: 5-line block ×16, first 2 shown]
	ds_load_b128 v[192:195], v166 offset:20992
	;;#ASMSTART
	
             v_fmac_f32 v16, v208, v196 
             
	;;#ASMEND
	;;#ASMSTART
	
             v_fmac_f32 v17, v208, v197 
             
	;;#ASMEND
	;; [unrolled: 5-line block ×16, first 2 shown]
	ds_load_b128 v[196:199], v166 offset:21248
	ds_load_b128 v[208:211], v165 offset:4864
	s_waitcnt lgkmcnt(2)
	;;#ASMSTART
	
             v_fmac_f32 v112, v180, v192 
             
	;;#ASMEND
	;;#ASMSTART
	
             v_fmac_f32 v113, v180, v193 
             
	;;#ASMEND
	;; [unrolled: 5-line block ×16, first 2 shown]
	s_waitcnt lgkmcnt(1)
	;;#ASMSTART
	
             v_fmac_f32 v100, v180, v196 
             
	;;#ASMEND
	;;#ASMSTART
	
             v_fmac_f32 v101, v180, v197 
             
	;;#ASMEND
	;; [unrolled: 5-line block ×16, first 2 shown]
	ds_load_b128 v[180:183], v165 offset:5120
	s_waitcnt lgkmcnt(1)
	;;#ASMSTART
	
             v_fmac_f32 v12, v208, v192 
             
	;;#ASMEND
	;;#ASMSTART
	
             v_fmac_f32 v13, v208, v193 
             
	;;#ASMEND
	;; [unrolled: 5-line block ×16, first 2 shown]
	ds_load_b128 v[192:195], v166 offset:21504
	;;#ASMSTART
	
             v_fmac_f32 v16, v208, v196 
             
	;;#ASMEND
	;;#ASMSTART
	
             v_fmac_f32 v17, v208, v197 
             
	;;#ASMEND
	;; [unrolled: 5-line block ×16, first 2 shown]
	ds_load_b128 v[196:199], v166 offset:21760
	ds_load_b128 v[208:211], v165 offset:5376
	s_waitcnt lgkmcnt(2)
	;;#ASMSTART
	
             v_fmac_f32 v112, v180, v192 
             
	;;#ASMEND
	;;#ASMSTART
	
             v_fmac_f32 v113, v180, v193 
             
	;;#ASMEND
	;; [unrolled: 5-line block ×16, first 2 shown]
	s_waitcnt lgkmcnt(1)
	;;#ASMSTART
	
             v_fmac_f32 v100, v180, v196 
             
	;;#ASMEND
	;;#ASMSTART
	
             v_fmac_f32 v101, v180, v197 
             
	;;#ASMEND
	;; [unrolled: 5-line block ×16, first 2 shown]
	ds_load_b128 v[180:183], v165 offset:5632
	s_waitcnt lgkmcnt(1)
	;;#ASMSTART
	
             v_fmac_f32 v12, v208, v192 
             
	;;#ASMEND
	;;#ASMSTART
	
             v_fmac_f32 v13, v208, v193 
             
	;;#ASMEND
	;; [unrolled: 5-line block ×16, first 2 shown]
	ds_load_b128 v[192:195], v166 offset:22016
	;;#ASMSTART
	
             v_fmac_f32 v16, v208, v196 
             
	;;#ASMEND
	;;#ASMSTART
	
             v_fmac_f32 v17, v208, v197 
             
	;;#ASMEND
	;; [unrolled: 5-line block ×16, first 2 shown]
	ds_load_b128 v[196:199], v166 offset:22272
	ds_load_b128 v[208:211], v165 offset:5888
	s_waitcnt lgkmcnt(2)
	;;#ASMSTART
	
             v_fmac_f32 v112, v180, v192 
             
	;;#ASMEND
	;;#ASMSTART
	
             v_fmac_f32 v113, v180, v193 
             
	;;#ASMEND
	;; [unrolled: 5-line block ×16, first 2 shown]
	s_waitcnt lgkmcnt(1)
	;;#ASMSTART
	
             v_fmac_f32 v100, v180, v196 
             
	;;#ASMEND
	;;#ASMSTART
	
             v_fmac_f32 v101, v180, v197 
             
	;;#ASMEND
	;; [unrolled: 5-line block ×16, first 2 shown]
	ds_load_b128 v[180:183], v165 offset:6144
	s_waitcnt lgkmcnt(1)
	;;#ASMSTART
	
             v_fmac_f32 v12, v208, v192 
             
	;;#ASMEND
	;;#ASMSTART
	
             v_fmac_f32 v13, v208, v193 
             
	;;#ASMEND
	;;#ASMSTART
	
             v_fmac_f32 v14, v208, v194 
             
	;;#ASMEND
	;;#ASMSTART
	
             v_fmac_f32 v15, v208, v195 
             
	;;#ASMEND
	;;#ASMSTART
	
             v_fmac_f32 v24, v209, v192 
             
	;;#ASMEND
	;;#ASMSTART
	
             v_fmac_f32 v25, v209, v193 
             
	;;#ASMEND
	;;#ASMSTART
	
             v_fmac_f32 v26, v209, v194 
             
	;;#ASMEND
	;;#ASMSTART
	
             v_fmac_f32 v27, v209, v195 
             
	;;#ASMEND
	;;#ASMSTART
	
             v_fmac_f32 v28, v210, v192 
             
	;;#ASMEND
	;;#ASMSTART
	
             v_fmac_f32 v29, v210, v193 
             
	;;#ASMEND
	;;#ASMSTART
	
             v_fmac_f32 v30, v210, v194 
             
	;;#ASMEND
	;;#ASMSTART
	
             v_fmac_f32 v31, v210, v195 
             
	;;#ASMEND
	;;#ASMSTART
	
             v_fmac_f32 v48, v211, v192 
             
	;;#ASMEND
	;;#ASMSTART
	
             v_fmac_f32 v49, v211, v193 
             
	;;#ASMEND
	;;#ASMSTART
	
             v_fmac_f32 v50, v211, v194 
             
	;;#ASMEND
	;;#ASMSTART
	
             v_fmac_f32 v51, v211, v195 
             
	;;#ASMEND
	ds_load_b128 v[192:195], v166 offset:22528
	;;#ASMSTART
	
             v_fmac_f32 v16, v208, v196 
             
	;;#ASMEND
	;;#ASMSTART
	
             v_fmac_f32 v17, v208, v197 
             
	;;#ASMEND
	;; [unrolled: 5-line block ×16, first 2 shown]
	ds_load_b128 v[196:199], v166 offset:22784
	ds_load_b128 v[208:211], v165 offset:6400
	s_waitcnt lgkmcnt(2)
	;;#ASMSTART
	
             v_fmac_f32 v112, v180, v192 
             
	;;#ASMEND
	;;#ASMSTART
	
             v_fmac_f32 v113, v180, v193 
             
	;;#ASMEND
	;; [unrolled: 5-line block ×16, first 2 shown]
	s_waitcnt lgkmcnt(1)
	;;#ASMSTART
	
             v_fmac_f32 v100, v180, v196 
             
	;;#ASMEND
	;;#ASMSTART
	
             v_fmac_f32 v101, v180, v197 
             
	;;#ASMEND
	;; [unrolled: 5-line block ×16, first 2 shown]
	ds_load_b128 v[180:183], v165 offset:6656
	s_waitcnt lgkmcnt(1)
	;;#ASMSTART
	
             v_fmac_f32 v12, v208, v192 
             
	;;#ASMEND
	;;#ASMSTART
	
             v_fmac_f32 v13, v208, v193 
             
	;;#ASMEND
	;; [unrolled: 5-line block ×16, first 2 shown]
	ds_load_b128 v[192:195], v166 offset:23040
	;;#ASMSTART
	
             v_fmac_f32 v16, v208, v196 
             
	;;#ASMEND
	;;#ASMSTART
	
             v_fmac_f32 v17, v208, v197 
             
	;;#ASMEND
	;; [unrolled: 5-line block ×16, first 2 shown]
	ds_load_b128 v[196:199], v166 offset:23296
	ds_load_b128 v[208:211], v165 offset:6912
	s_waitcnt lgkmcnt(2)
	;;#ASMSTART
	
             v_fmac_f32 v112, v180, v192 
             
	;;#ASMEND
	;;#ASMSTART
	
             v_fmac_f32 v113, v180, v193 
             
	;;#ASMEND
	;; [unrolled: 5-line block ×16, first 2 shown]
	s_waitcnt lgkmcnt(1)
	;;#ASMSTART
	
             v_fmac_f32 v100, v180, v196 
             
	;;#ASMEND
	;;#ASMSTART
	
             v_fmac_f32 v101, v180, v197 
             
	;;#ASMEND
	;; [unrolled: 5-line block ×16, first 2 shown]
	ds_load_b128 v[180:183], v165 offset:7168
	s_waitcnt lgkmcnt(1)
	;;#ASMSTART
	
             v_fmac_f32 v12, v208, v192 
             
	;;#ASMEND
	;;#ASMSTART
	
             v_fmac_f32 v13, v208, v193 
             
	;;#ASMEND
	;; [unrolled: 5-line block ×16, first 2 shown]
	ds_load_b128 v[192:195], v166 offset:23552
	;;#ASMSTART
	
             v_fmac_f32 v16, v208, v196 
             
	;;#ASMEND
	;;#ASMSTART
	
             v_fmac_f32 v17, v208, v197 
             
	;;#ASMEND
	;; [unrolled: 5-line block ×16, first 2 shown]
	ds_load_b128 v[196:199], v166 offset:23808
	ds_load_b128 v[208:211], v165 offset:7424
	s_waitcnt lgkmcnt(2)
	;;#ASMSTART
	
             v_fmac_f32 v112, v180, v192 
             
	;;#ASMEND
	;;#ASMSTART
	
             v_fmac_f32 v113, v180, v193 
             
	;;#ASMEND
	;; [unrolled: 5-line block ×16, first 2 shown]
	s_waitcnt lgkmcnt(1)
	;;#ASMSTART
	
             v_fmac_f32 v100, v180, v196 
             
	;;#ASMEND
	;;#ASMSTART
	
             v_fmac_f32 v101, v180, v197 
             
	;;#ASMEND
	;; [unrolled: 5-line block ×16, first 2 shown]
	ds_load_b128 v[180:183], v165 offset:7680
	s_waitcnt lgkmcnt(1)
	;;#ASMSTART
	
             v_fmac_f32 v12, v208, v192 
             
	;;#ASMEND
	;;#ASMSTART
	
             v_fmac_f32 v13, v208, v193 
             
	;;#ASMEND
	;; [unrolled: 5-line block ×16, first 2 shown]
	ds_load_b128 v[192:195], v166 offset:24064
	;;#ASMSTART
	
             v_fmac_f32 v16, v208, v196 
             
	;;#ASMEND
	;;#ASMSTART
	
             v_fmac_f32 v17, v208, v197 
             
	;;#ASMEND
	;; [unrolled: 5-line block ×16, first 2 shown]
	ds_load_b128 v[196:199], v166 offset:24320
	ds_load_b128 v[208:211], v165 offset:7936
	s_waitcnt lgkmcnt(2)
	;;#ASMSTART
	
             v_fmac_f32 v112, v180, v192 
             
	;;#ASMEND
	;;#ASMSTART
	
             v_fmac_f32 v113, v180, v193 
             
	;;#ASMEND
	;; [unrolled: 5-line block ×16, first 2 shown]
	s_waitcnt lgkmcnt(1)
	;;#ASMSTART
	
             v_fmac_f32 v100, v180, v196 
             
	;;#ASMEND
	;;#ASMSTART
	
             v_fmac_f32 v101, v180, v197 
             
	;;#ASMEND
	;; [unrolled: 5-line block ×16, first 2 shown]
	s_waitcnt lgkmcnt(0)
	;;#ASMSTART
	
             v_fmac_f32 v12, v208, v192 
             
	;;#ASMEND
	;;#ASMSTART
	
             v_fmac_f32 v13, v208, v193 
             
	;;#ASMEND
	;;#ASMSTART
	
             v_fmac_f32 v14, v208, v194 
             
	;;#ASMEND
	;;#ASMSTART
	
             v_fmac_f32 v15, v208, v195 
             
	;;#ASMEND
	;;#ASMSTART
	
             v_fmac_f32 v24, v209, v192 
             
	;;#ASMEND
	;;#ASMSTART
	
             v_fmac_f32 v25, v209, v193 
             
	;;#ASMEND
	;;#ASMSTART
	
             v_fmac_f32 v26, v209, v194 
             
	;;#ASMEND
	;;#ASMSTART
	
             v_fmac_f32 v27, v209, v195 
             
	;;#ASMEND
	;;#ASMSTART
	
             v_fmac_f32 v28, v210, v192 
             
	;;#ASMEND
	;;#ASMSTART
	
             v_fmac_f32 v29, v210, v193 
             
	;;#ASMEND
	;;#ASMSTART
	
             v_fmac_f32 v30, v210, v194 
             
	;;#ASMEND
	;;#ASMSTART
	
             v_fmac_f32 v31, v210, v195 
             
	;;#ASMEND
	;;#ASMSTART
	
             v_fmac_f32 v48, v211, v192 
             
	;;#ASMEND
	;;#ASMSTART
	
             v_fmac_f32 v49, v211, v193 
             
	;;#ASMEND
	;;#ASMSTART
	
             v_fmac_f32 v50, v211, v194 
             
	;;#ASMEND
	;;#ASMSTART
	
             v_fmac_f32 v51, v211, v195 
             
	;;#ASMEND
	;;#ASMSTART
	
             v_fmac_f32 v16, v208, v196 
             
	;;#ASMEND
	;;#ASMSTART
	
             v_fmac_f32 v17, v208, v197 
             
	;;#ASMEND
	;;#ASMSTART
	
             v_fmac_f32 v18, v208, v198 
             
	;;#ASMEND
	;;#ASMSTART
	
             v_fmac_f32 v19, v208, v199 
             
	;;#ASMEND
	;;#ASMSTART
	
             v_fmac_f32 v20, v209, v196 
             
	;;#ASMEND
	;;#ASMSTART
	
             v_fmac_f32 v21, v209, v197 
             
	;;#ASMEND
	;;#ASMSTART
	
             v_fmac_f32 v22, v209, v198 
             
	;;#ASMEND
	;;#ASMSTART
	
             v_fmac_f32 v23, v209, v199 
             
	;;#ASMEND
	;;#ASMSTART
	
             v_fmac_f32 v32, v210, v196 
             
	;;#ASMEND
	;;#ASMSTART
	
             v_fmac_f32 v33, v210, v197 
             
	;;#ASMEND
	;;#ASMSTART
	
             v_fmac_f32 v34, v210, v198 
             
	;;#ASMEND
	;;#ASMSTART
	
             v_fmac_f32 v35, v210, v199 
             
	;;#ASMEND
	;;#ASMSTART
	
             v_fmac_f32 v36, v211, v196 
             
	;;#ASMEND
	;;#ASMSTART
	
             v_fmac_f32 v37, v211, v197 
             
	;;#ASMEND
	;;#ASMSTART
	
             v_fmac_f32 v38, v211, v198 
             
	;;#ASMEND
	;;#ASMSTART
	
             v_fmac_f32 v39, v211, v199 
             
	;;#ASMEND
	ds_store_b128 v167, v[116:119] offset:8192
	ds_store_b128 v167, v[132:135] offset:24576
	;; [unrolled: 1-line block ×4, first 2 shown]
	flat_load_b32 v130, v[6:7] offset:12
	flat_load_b32 v146, v[8:9] offset:8
	s_waitcnt vmcnt(1) lgkmcnt(1)
	v_mad_u64_u32 v[128:129], null, v130, 15, v[162:163]
	s_waitcnt vmcnt(0) lgkmcnt(0)
	v_mad_u64_u32 v[144:145], null, v146, 15, v[163:164]
	s_delay_alu instid0(VALU_DEP_2)
	v_lshlrev_b32_e32 v129, 2, v128
.LBB3_18:                               ;   Parent Loop BB3_9 Depth=1
                                        ; =>  This Inner Loop Header: Depth=2
	v_readfirstlane_b32 s4, v0
	v_readfirstlane_b32 s5, v1
	;; [unrolled: 1-line block ×4, first 2 shown]
	s_delay_alu instid0(VALU_DEP_3) | instskip(NEXT) | instid1(VALU_DEP_2)
	v_cmp_eq_u64_e32 vcc_lo, s[4:5], v[0:1]
	v_cmp_eq_u64_e64 s0, s[6:7], v[149:150]
	s_delay_alu instid0(VALU_DEP_1) | instskip(NEXT) | instid1(SALU_CYCLE_1)
	s_and_b32 s0, vcc_lo, s0
	s_and_saveexec_b32 s0, s0
	buffer_load_b128 v[116:119], v129, s[4:7], 0 offen
                                        ; implicit-def: $vgpr129
	s_xor_b32 exec_lo, exec_lo, s0
	s_cbranch_execnz .LBB3_18
; %bb.19:                               ;   in Loop: Header=BB3_9 Depth=1
	s_mov_b32 exec_lo, s9
	v_add_nc_u32_e32 v162, v130, v128
	s_mov_b32 s9, exec_lo
	s_delay_alu instid0(VALU_DEP_1)
	v_lshlrev_b32_e32 v132, 2, v162
.LBB3_20:                               ;   Parent Loop BB3_9 Depth=1
                                        ; =>  This Inner Loop Header: Depth=2
	v_readfirstlane_b32 s4, v0
	v_readfirstlane_b32 s5, v1
	;; [unrolled: 1-line block ×4, first 2 shown]
	s_delay_alu instid0(VALU_DEP_3) | instskip(NEXT) | instid1(VALU_DEP_2)
	v_cmp_eq_u64_e32 vcc_lo, s[4:5], v[0:1]
	v_cmp_eq_u64_e64 s0, s[6:7], v[149:150]
	s_delay_alu instid0(VALU_DEP_1) | instskip(NEXT) | instid1(SALU_CYCLE_1)
	s_and_b32 s0, vcc_lo, s0
	s_and_saveexec_b32 s0, s0
	buffer_load_b128 v[128:131], v132, s[4:7], 0 offen
                                        ; implicit-def: $vgpr132
	s_xor_b32 exec_lo, exec_lo, s0
	s_cbranch_execnz .LBB3_20
; %bb.21:                               ;   in Loop: Header=BB3_9 Depth=1
	s_mov_b32 exec_lo, s9
	v_lshlrev_b32_e32 v145, 2, v144
	s_mov_b32 s9, exec_lo
.LBB3_22:                               ;   Parent Loop BB3_9 Depth=1
                                        ; =>  This Inner Loop Header: Depth=2
	v_readfirstlane_b32 s4, v2
	v_readfirstlane_b32 s5, v3
	;; [unrolled: 1-line block ×4, first 2 shown]
	s_delay_alu instid0(VALU_DEP_3) | instskip(NEXT) | instid1(VALU_DEP_2)
	v_cmp_eq_u64_e32 vcc_lo, s[4:5], v[2:3]
	v_cmp_eq_u64_e64 s0, s[6:7], v[160:161]
	s_delay_alu instid0(VALU_DEP_1) | instskip(NEXT) | instid1(SALU_CYCLE_1)
	s_and_b32 s0, vcc_lo, s0
	s_and_saveexec_b32 s0, s0
	buffer_load_b128 v[132:135], v145, s[4:7], 0 offen
                                        ; implicit-def: $vgpr145
	s_xor_b32 exec_lo, exec_lo, s0
	s_cbranch_execnz .LBB3_22
; %bb.23:                               ;   in Loop: Header=BB3_9 Depth=1
	s_mov_b32 exec_lo, s9
	v_add_nc_u32_e32 v163, v146, v144
	s_mov_b32 s9, exec_lo
	s_delay_alu instid0(VALU_DEP_1)
	v_lshlrev_b32_e32 v180, 2, v163
.LBB3_24:                               ;   Parent Loop BB3_9 Depth=1
                                        ; =>  This Inner Loop Header: Depth=2
	v_readfirstlane_b32 s4, v2
	v_readfirstlane_b32 s5, v3
	;; [unrolled: 1-line block ×4, first 2 shown]
	s_delay_alu instid0(VALU_DEP_3) | instskip(NEXT) | instid1(VALU_DEP_2)
	v_cmp_eq_u64_e32 vcc_lo, s[4:5], v[2:3]
	v_cmp_eq_u64_e64 s0, s[6:7], v[160:161]
	s_delay_alu instid0(VALU_DEP_1) | instskip(NEXT) | instid1(SALU_CYCLE_1)
	s_and_b32 s0, vcc_lo, s0
	s_and_saveexec_b32 s0, s0
	buffer_load_b128 v[144:147], v180, s[4:7], 0 offen
                                        ; implicit-def: $vgpr180
	s_xor_b32 exec_lo, exec_lo, s0
	s_cbranch_execnz .LBB3_24
; %bb.25:                               ;   in Loop: Header=BB3_9 Depth=1
	s_mov_b32 exec_lo, s9
	s_waitcnt vmcnt(0) lgkmcnt(0)
	s_barrier
	ds_load_b128 v[180:183], v165 offset:8192
	ds_load_b128 v[192:195], v166 offset:24576
	;; [unrolled: 1-line block ×4, first 2 shown]
	s_add_i32 s8, s8, 32
	s_waitcnt lgkmcnt(2)
	;;#ASMSTART
	
             v_fmac_f32 v112, v180, v192 
             
	;;#ASMEND
	;;#ASMSTART
	
             v_fmac_f32 v113, v180, v193 
             
	;;#ASMEND
	;; [unrolled: 5-line block ×16, first 2 shown]
	s_waitcnt lgkmcnt(1)
	;;#ASMSTART
	
             v_fmac_f32 v100, v180, v196 
             
	;;#ASMEND
	;;#ASMSTART
	
             v_fmac_f32 v101, v180, v197 
             
	;;#ASMEND
	;; [unrolled: 5-line block ×16, first 2 shown]
	ds_load_b128 v[180:183], v165 offset:8704
	s_waitcnt lgkmcnt(1)
	;;#ASMSTART
	
             v_fmac_f32 v12, v208, v192 
             
	;;#ASMEND
	;;#ASMSTART
	
             v_fmac_f32 v13, v208, v193 
             
	;;#ASMEND
	;;#ASMSTART
	
             v_fmac_f32 v14, v208, v194 
             
	;;#ASMEND
	;;#ASMSTART
	
             v_fmac_f32 v15, v208, v195 
             
	;;#ASMEND
	;;#ASMSTART
	
             v_fmac_f32 v24, v209, v192 
             
	;;#ASMEND
	;;#ASMSTART
	
             v_fmac_f32 v25, v209, v193 
             
	;;#ASMEND
	;;#ASMSTART
	
             v_fmac_f32 v26, v209, v194 
             
	;;#ASMEND
	;;#ASMSTART
	
             v_fmac_f32 v27, v209, v195 
             
	;;#ASMEND
	;;#ASMSTART
	
             v_fmac_f32 v28, v210, v192 
             
	;;#ASMEND
	;;#ASMSTART
	
             v_fmac_f32 v29, v210, v193 
             
	;;#ASMEND
	;;#ASMSTART
	
             v_fmac_f32 v30, v210, v194 
             
	;;#ASMEND
	;;#ASMSTART
	
             v_fmac_f32 v31, v210, v195 
             
	;;#ASMEND
	;;#ASMSTART
	
             v_fmac_f32 v48, v211, v192 
             
	;;#ASMEND
	;;#ASMSTART
	
             v_fmac_f32 v49, v211, v193 
             
	;;#ASMEND
	;;#ASMSTART
	
             v_fmac_f32 v50, v211, v194 
             
	;;#ASMEND
	;;#ASMSTART
	
             v_fmac_f32 v51, v211, v195 
             
	;;#ASMEND
	ds_load_b128 v[192:195], v166 offset:25088
	;;#ASMSTART
	
             v_fmac_f32 v16, v208, v196 
             
	;;#ASMEND
	;;#ASMSTART
	
             v_fmac_f32 v17, v208, v197 
             
	;;#ASMEND
	;; [unrolled: 5-line block ×16, first 2 shown]
	ds_load_b128 v[196:199], v166 offset:25344
	ds_load_b128 v[208:211], v165 offset:8960
	s_waitcnt lgkmcnt(2)
	;;#ASMSTART
	
             v_fmac_f32 v112, v180, v192 
             
	;;#ASMEND
	;;#ASMSTART
	
             v_fmac_f32 v113, v180, v193 
             
	;;#ASMEND
	;; [unrolled: 5-line block ×16, first 2 shown]
	s_waitcnt lgkmcnt(1)
	;;#ASMSTART
	
             v_fmac_f32 v100, v180, v196 
             
	;;#ASMEND
	;;#ASMSTART
	
             v_fmac_f32 v101, v180, v197 
             
	;;#ASMEND
	;; [unrolled: 5-line block ×16, first 2 shown]
	ds_load_b128 v[180:183], v165 offset:9216
	s_waitcnt lgkmcnt(1)
	;;#ASMSTART
	
             v_fmac_f32 v12, v208, v192 
             
	;;#ASMEND
	;;#ASMSTART
	
             v_fmac_f32 v13, v208, v193 
             
	;;#ASMEND
	;;#ASMSTART
	
             v_fmac_f32 v14, v208, v194 
             
	;;#ASMEND
	;;#ASMSTART
	
             v_fmac_f32 v15, v208, v195 
             
	;;#ASMEND
	;;#ASMSTART
	
             v_fmac_f32 v24, v209, v192 
             
	;;#ASMEND
	;;#ASMSTART
	
             v_fmac_f32 v25, v209, v193 
             
	;;#ASMEND
	;;#ASMSTART
	
             v_fmac_f32 v26, v209, v194 
             
	;;#ASMEND
	;;#ASMSTART
	
             v_fmac_f32 v27, v209, v195 
             
	;;#ASMEND
	;;#ASMSTART
	
             v_fmac_f32 v28, v210, v192 
             
	;;#ASMEND
	;;#ASMSTART
	
             v_fmac_f32 v29, v210, v193 
             
	;;#ASMEND
	;;#ASMSTART
	
             v_fmac_f32 v30, v210, v194 
             
	;;#ASMEND
	;;#ASMSTART
	
             v_fmac_f32 v31, v210, v195 
             
	;;#ASMEND
	;;#ASMSTART
	
             v_fmac_f32 v48, v211, v192 
             
	;;#ASMEND
	;;#ASMSTART
	
             v_fmac_f32 v49, v211, v193 
             
	;;#ASMEND
	;;#ASMSTART
	
             v_fmac_f32 v50, v211, v194 
             
	;;#ASMEND
	;;#ASMSTART
	
             v_fmac_f32 v51, v211, v195 
             
	;;#ASMEND
	ds_load_b128 v[192:195], v166 offset:25600
	;;#ASMSTART
	
             v_fmac_f32 v16, v208, v196 
             
	;;#ASMEND
	;;#ASMSTART
	
             v_fmac_f32 v17, v208, v197 
             
	;;#ASMEND
	;; [unrolled: 5-line block ×16, first 2 shown]
	ds_load_b128 v[196:199], v166 offset:25856
	ds_load_b128 v[208:211], v165 offset:9472
	s_waitcnt lgkmcnt(2)
	;;#ASMSTART
	
             v_fmac_f32 v112, v180, v192 
             
	;;#ASMEND
	;;#ASMSTART
	
             v_fmac_f32 v113, v180, v193 
             
	;;#ASMEND
	;; [unrolled: 5-line block ×16, first 2 shown]
	s_waitcnt lgkmcnt(1)
	;;#ASMSTART
	
             v_fmac_f32 v100, v180, v196 
             
	;;#ASMEND
	;;#ASMSTART
	
             v_fmac_f32 v101, v180, v197 
             
	;;#ASMEND
	;; [unrolled: 5-line block ×16, first 2 shown]
	ds_load_b128 v[180:183], v165 offset:9728
	s_waitcnt lgkmcnt(1)
	;;#ASMSTART
	
             v_fmac_f32 v12, v208, v192 
             
	;;#ASMEND
	;;#ASMSTART
	
             v_fmac_f32 v13, v208, v193 
             
	;;#ASMEND
	;;#ASMSTART
	
             v_fmac_f32 v14, v208, v194 
             
	;;#ASMEND
	;;#ASMSTART
	
             v_fmac_f32 v15, v208, v195 
             
	;;#ASMEND
	;;#ASMSTART
	
             v_fmac_f32 v24, v209, v192 
             
	;;#ASMEND
	;;#ASMSTART
	
             v_fmac_f32 v25, v209, v193 
             
	;;#ASMEND
	;;#ASMSTART
	
             v_fmac_f32 v26, v209, v194 
             
	;;#ASMEND
	;;#ASMSTART
	
             v_fmac_f32 v27, v209, v195 
             
	;;#ASMEND
	;;#ASMSTART
	
             v_fmac_f32 v28, v210, v192 
             
	;;#ASMEND
	;;#ASMSTART
	
             v_fmac_f32 v29, v210, v193 
             
	;;#ASMEND
	;;#ASMSTART
	
             v_fmac_f32 v30, v210, v194 
             
	;;#ASMEND
	;;#ASMSTART
	
             v_fmac_f32 v31, v210, v195 
             
	;;#ASMEND
	;;#ASMSTART
	
             v_fmac_f32 v48, v211, v192 
             
	;;#ASMEND
	;;#ASMSTART
	
             v_fmac_f32 v49, v211, v193 
             
	;;#ASMEND
	;;#ASMSTART
	
             v_fmac_f32 v50, v211, v194 
             
	;;#ASMEND
	;;#ASMSTART
	
             v_fmac_f32 v51, v211, v195 
             
	;;#ASMEND
	ds_load_b128 v[192:195], v166 offset:26112
	;;#ASMSTART
	
             v_fmac_f32 v16, v208, v196 
             
	;;#ASMEND
	;;#ASMSTART
	
             v_fmac_f32 v17, v208, v197 
             
	;;#ASMEND
	;; [unrolled: 5-line block ×16, first 2 shown]
	ds_load_b128 v[196:199], v166 offset:26368
	ds_load_b128 v[208:211], v165 offset:9984
	s_waitcnt lgkmcnt(2)
	;;#ASMSTART
	
             v_fmac_f32 v112, v180, v192 
             
	;;#ASMEND
	;;#ASMSTART
	
             v_fmac_f32 v113, v180, v193 
             
	;;#ASMEND
	;; [unrolled: 5-line block ×16, first 2 shown]
	s_waitcnt lgkmcnt(1)
	;;#ASMSTART
	
             v_fmac_f32 v100, v180, v196 
             
	;;#ASMEND
	;;#ASMSTART
	
             v_fmac_f32 v101, v180, v197 
             
	;;#ASMEND
	;; [unrolled: 5-line block ×16, first 2 shown]
	ds_load_b128 v[180:183], v165 offset:10240
	s_waitcnt lgkmcnt(1)
	;;#ASMSTART
	
             v_fmac_f32 v12, v208, v192 
             
	;;#ASMEND
	;;#ASMSTART
	
             v_fmac_f32 v13, v208, v193 
             
	;;#ASMEND
	;; [unrolled: 5-line block ×16, first 2 shown]
	ds_load_b128 v[192:195], v166 offset:26624
	;;#ASMSTART
	
             v_fmac_f32 v16, v208, v196 
             
	;;#ASMEND
	;;#ASMSTART
	
             v_fmac_f32 v17, v208, v197 
             
	;;#ASMEND
	;; [unrolled: 5-line block ×16, first 2 shown]
	ds_load_b128 v[196:199], v166 offset:26880
	ds_load_b128 v[208:211], v165 offset:10496
	s_waitcnt lgkmcnt(2)
	;;#ASMSTART
	
             v_fmac_f32 v112, v180, v192 
             
	;;#ASMEND
	;;#ASMSTART
	
             v_fmac_f32 v113, v180, v193 
             
	;;#ASMEND
	;; [unrolled: 5-line block ×16, first 2 shown]
	s_waitcnt lgkmcnt(1)
	;;#ASMSTART
	
             v_fmac_f32 v100, v180, v196 
             
	;;#ASMEND
	;;#ASMSTART
	
             v_fmac_f32 v101, v180, v197 
             
	;;#ASMEND
	;; [unrolled: 5-line block ×16, first 2 shown]
	ds_load_b128 v[180:183], v165 offset:10752
	s_waitcnt lgkmcnt(1)
	;;#ASMSTART
	
             v_fmac_f32 v12, v208, v192 
             
	;;#ASMEND
	;;#ASMSTART
	
             v_fmac_f32 v13, v208, v193 
             
	;;#ASMEND
	;; [unrolled: 5-line block ×16, first 2 shown]
	ds_load_b128 v[192:195], v166 offset:27136
	;;#ASMSTART
	
             v_fmac_f32 v16, v208, v196 
             
	;;#ASMEND
	;;#ASMSTART
	
             v_fmac_f32 v17, v208, v197 
             
	;;#ASMEND
	;; [unrolled: 5-line block ×16, first 2 shown]
	ds_load_b128 v[196:199], v166 offset:27392
	ds_load_b128 v[208:211], v165 offset:11008
	s_waitcnt lgkmcnt(2)
	;;#ASMSTART
	
             v_fmac_f32 v112, v180, v192 
             
	;;#ASMEND
	;;#ASMSTART
	
             v_fmac_f32 v113, v180, v193 
             
	;;#ASMEND
	;; [unrolled: 5-line block ×16, first 2 shown]
	s_waitcnt lgkmcnt(1)
	;;#ASMSTART
	
             v_fmac_f32 v100, v180, v196 
             
	;;#ASMEND
	;;#ASMSTART
	
             v_fmac_f32 v101, v180, v197 
             
	;;#ASMEND
	;; [unrolled: 5-line block ×16, first 2 shown]
	ds_load_b128 v[180:183], v165 offset:11264
	s_waitcnt lgkmcnt(1)
	;;#ASMSTART
	
             v_fmac_f32 v12, v208, v192 
             
	;;#ASMEND
	;;#ASMSTART
	
             v_fmac_f32 v13, v208, v193 
             
	;;#ASMEND
	;; [unrolled: 5-line block ×16, first 2 shown]
	ds_load_b128 v[192:195], v166 offset:27648
	;;#ASMSTART
	
             v_fmac_f32 v16, v208, v196 
             
	;;#ASMEND
	;;#ASMSTART
	
             v_fmac_f32 v17, v208, v197 
             
	;;#ASMEND
	;; [unrolled: 5-line block ×16, first 2 shown]
	ds_load_b128 v[196:199], v166 offset:27904
	ds_load_b128 v[208:211], v165 offset:11520
	s_waitcnt lgkmcnt(2)
	;;#ASMSTART
	
             v_fmac_f32 v112, v180, v192 
             
	;;#ASMEND
	;;#ASMSTART
	
             v_fmac_f32 v113, v180, v193 
             
	;;#ASMEND
	;; [unrolled: 5-line block ×16, first 2 shown]
	s_waitcnt lgkmcnt(1)
	;;#ASMSTART
	
             v_fmac_f32 v100, v180, v196 
             
	;;#ASMEND
	;;#ASMSTART
	
             v_fmac_f32 v101, v180, v197 
             
	;;#ASMEND
	;; [unrolled: 5-line block ×16, first 2 shown]
	ds_load_b128 v[180:183], v165 offset:11776
	s_waitcnt lgkmcnt(1)
	;;#ASMSTART
	
             v_fmac_f32 v12, v208, v192 
             
	;;#ASMEND
	;;#ASMSTART
	
             v_fmac_f32 v13, v208, v193 
             
	;;#ASMEND
	;;#ASMSTART
	
             v_fmac_f32 v14, v208, v194 
             
	;;#ASMEND
	;;#ASMSTART
	
             v_fmac_f32 v15, v208, v195 
             
	;;#ASMEND
	;;#ASMSTART
	
             v_fmac_f32 v24, v209, v192 
             
	;;#ASMEND
	;;#ASMSTART
	
             v_fmac_f32 v25, v209, v193 
             
	;;#ASMEND
	;;#ASMSTART
	
             v_fmac_f32 v26, v209, v194 
             
	;;#ASMEND
	;;#ASMSTART
	
             v_fmac_f32 v27, v209, v195 
             
	;;#ASMEND
	;;#ASMSTART
	
             v_fmac_f32 v28, v210, v192 
             
	;;#ASMEND
	;;#ASMSTART
	
             v_fmac_f32 v29, v210, v193 
             
	;;#ASMEND
	;;#ASMSTART
	
             v_fmac_f32 v30, v210, v194 
             
	;;#ASMEND
	;;#ASMSTART
	
             v_fmac_f32 v31, v210, v195 
             
	;;#ASMEND
	;;#ASMSTART
	
             v_fmac_f32 v48, v211, v192 
             
	;;#ASMEND
	;;#ASMSTART
	
             v_fmac_f32 v49, v211, v193 
             
	;;#ASMEND
	;;#ASMSTART
	
             v_fmac_f32 v50, v211, v194 
             
	;;#ASMEND
	;;#ASMSTART
	
             v_fmac_f32 v51, v211, v195 
             
	;;#ASMEND
	ds_load_b128 v[192:195], v166 offset:28160
	;;#ASMSTART
	
             v_fmac_f32 v16, v208, v196 
             
	;;#ASMEND
	;;#ASMSTART
	
             v_fmac_f32 v17, v208, v197 
             
	;;#ASMEND
	;; [unrolled: 5-line block ×16, first 2 shown]
	ds_load_b128 v[196:199], v166 offset:28416
	ds_load_b128 v[208:211], v165 offset:12032
	s_waitcnt lgkmcnt(2)
	;;#ASMSTART
	
             v_fmac_f32 v112, v180, v192 
             
	;;#ASMEND
	;;#ASMSTART
	
             v_fmac_f32 v113, v180, v193 
             
	;;#ASMEND
	;; [unrolled: 5-line block ×16, first 2 shown]
	s_waitcnt lgkmcnt(1)
	;;#ASMSTART
	
             v_fmac_f32 v100, v180, v196 
             
	;;#ASMEND
	;;#ASMSTART
	
             v_fmac_f32 v101, v180, v197 
             
	;;#ASMEND
	;; [unrolled: 5-line block ×16, first 2 shown]
	ds_load_b128 v[180:183], v165 offset:12288
	s_waitcnt lgkmcnt(1)
	;;#ASMSTART
	
             v_fmac_f32 v12, v208, v192 
             
	;;#ASMEND
	;;#ASMSTART
	
             v_fmac_f32 v13, v208, v193 
             
	;;#ASMEND
	;; [unrolled: 5-line block ×16, first 2 shown]
	ds_load_b128 v[192:195], v166 offset:28672
	;;#ASMSTART
	
             v_fmac_f32 v16, v208, v196 
             
	;;#ASMEND
	;;#ASMSTART
	
             v_fmac_f32 v17, v208, v197 
             
	;;#ASMEND
	;; [unrolled: 5-line block ×16, first 2 shown]
	ds_load_b128 v[196:199], v166 offset:28928
	ds_load_b128 v[208:211], v165 offset:12544
	s_waitcnt lgkmcnt(2)
	;;#ASMSTART
	
             v_fmac_f32 v112, v180, v192 
             
	;;#ASMEND
	;;#ASMSTART
	
             v_fmac_f32 v113, v180, v193 
             
	;;#ASMEND
	;; [unrolled: 5-line block ×16, first 2 shown]
	s_waitcnt lgkmcnt(1)
	;;#ASMSTART
	
             v_fmac_f32 v100, v180, v196 
             
	;;#ASMEND
	;;#ASMSTART
	
             v_fmac_f32 v101, v180, v197 
             
	;;#ASMEND
	;; [unrolled: 5-line block ×16, first 2 shown]
	ds_load_b128 v[180:183], v165 offset:12800
	s_waitcnt lgkmcnt(1)
	;;#ASMSTART
	
             v_fmac_f32 v12, v208, v192 
             
	;;#ASMEND
	;;#ASMSTART
	
             v_fmac_f32 v13, v208, v193 
             
	;;#ASMEND
	;; [unrolled: 5-line block ×16, first 2 shown]
	ds_load_b128 v[192:195], v166 offset:29184
	;;#ASMSTART
	
             v_fmac_f32 v16, v208, v196 
             
	;;#ASMEND
	;;#ASMSTART
	
             v_fmac_f32 v17, v208, v197 
             
	;;#ASMEND
	;; [unrolled: 5-line block ×16, first 2 shown]
	ds_load_b128 v[196:199], v166 offset:29440
	ds_load_b128 v[208:211], v165 offset:13056
	s_waitcnt lgkmcnt(2)
	;;#ASMSTART
	
             v_fmac_f32 v112, v180, v192 
             
	;;#ASMEND
	;;#ASMSTART
	
             v_fmac_f32 v113, v180, v193 
             
	;;#ASMEND
	;; [unrolled: 5-line block ×16, first 2 shown]
	s_waitcnt lgkmcnt(1)
	;;#ASMSTART
	
             v_fmac_f32 v100, v180, v196 
             
	;;#ASMEND
	;;#ASMSTART
	
             v_fmac_f32 v101, v180, v197 
             
	;;#ASMEND
	;; [unrolled: 5-line block ×16, first 2 shown]
	ds_load_b128 v[180:183], v165 offset:13312
	s_waitcnt lgkmcnt(1)
	;;#ASMSTART
	
             v_fmac_f32 v12, v208, v192 
             
	;;#ASMEND
	;;#ASMSTART
	
             v_fmac_f32 v13, v208, v193 
             
	;;#ASMEND
	;;#ASMSTART
	
             v_fmac_f32 v14, v208, v194 
             
	;;#ASMEND
	;;#ASMSTART
	
             v_fmac_f32 v15, v208, v195 
             
	;;#ASMEND
	;;#ASMSTART
	
             v_fmac_f32 v24, v209, v192 
             
	;;#ASMEND
	;;#ASMSTART
	
             v_fmac_f32 v25, v209, v193 
             
	;;#ASMEND
	;;#ASMSTART
	
             v_fmac_f32 v26, v209, v194 
             
	;;#ASMEND
	;;#ASMSTART
	
             v_fmac_f32 v27, v209, v195 
             
	;;#ASMEND
	;;#ASMSTART
	
             v_fmac_f32 v28, v210, v192 
             
	;;#ASMEND
	;;#ASMSTART
	
             v_fmac_f32 v29, v210, v193 
             
	;;#ASMEND
	;;#ASMSTART
	
             v_fmac_f32 v30, v210, v194 
             
	;;#ASMEND
	;;#ASMSTART
	
             v_fmac_f32 v31, v210, v195 
             
	;;#ASMEND
	;;#ASMSTART
	
             v_fmac_f32 v48, v211, v192 
             
	;;#ASMEND
	;;#ASMSTART
	
             v_fmac_f32 v49, v211, v193 
             
	;;#ASMEND
	;;#ASMSTART
	
             v_fmac_f32 v50, v211, v194 
             
	;;#ASMEND
	;;#ASMSTART
	
             v_fmac_f32 v51, v211, v195 
             
	;;#ASMEND
	ds_load_b128 v[192:195], v166 offset:29696
	;;#ASMSTART
	
             v_fmac_f32 v16, v208, v196 
             
	;;#ASMEND
	;;#ASMSTART
	
             v_fmac_f32 v17, v208, v197 
             
	;;#ASMEND
	;; [unrolled: 5-line block ×16, first 2 shown]
	ds_load_b128 v[196:199], v166 offset:29952
	ds_load_b128 v[208:211], v165 offset:13568
	s_waitcnt lgkmcnt(2)
	;;#ASMSTART
	
             v_fmac_f32 v112, v180, v192 
             
	;;#ASMEND
	;;#ASMSTART
	
             v_fmac_f32 v113, v180, v193 
             
	;;#ASMEND
	;; [unrolled: 5-line block ×16, first 2 shown]
	s_waitcnt lgkmcnt(1)
	;;#ASMSTART
	
             v_fmac_f32 v100, v180, v196 
             
	;;#ASMEND
	;;#ASMSTART
	
             v_fmac_f32 v101, v180, v197 
             
	;;#ASMEND
	;; [unrolled: 5-line block ×16, first 2 shown]
	ds_load_b128 v[180:183], v165 offset:13824
	s_waitcnt lgkmcnt(1)
	;;#ASMSTART
	
             v_fmac_f32 v12, v208, v192 
             
	;;#ASMEND
	;;#ASMSTART
	
             v_fmac_f32 v13, v208, v193 
             
	;;#ASMEND
	;; [unrolled: 5-line block ×16, first 2 shown]
	ds_load_b128 v[192:195], v166 offset:30208
	;;#ASMSTART
	
             v_fmac_f32 v16, v208, v196 
             
	;;#ASMEND
	;;#ASMSTART
	
             v_fmac_f32 v17, v208, v197 
             
	;;#ASMEND
	;; [unrolled: 5-line block ×16, first 2 shown]
	ds_load_b128 v[196:199], v166 offset:30464
	ds_load_b128 v[208:211], v165 offset:14080
	s_waitcnt lgkmcnt(2)
	;;#ASMSTART
	
             v_fmac_f32 v112, v180, v192 
             
	;;#ASMEND
	;;#ASMSTART
	
             v_fmac_f32 v113, v180, v193 
             
	;;#ASMEND
	;; [unrolled: 5-line block ×16, first 2 shown]
	s_waitcnt lgkmcnt(1)
	;;#ASMSTART
	
             v_fmac_f32 v100, v180, v196 
             
	;;#ASMEND
	;;#ASMSTART
	
             v_fmac_f32 v101, v180, v197 
             
	;;#ASMEND
	;; [unrolled: 5-line block ×16, first 2 shown]
	ds_load_b128 v[180:183], v165 offset:14336
	s_waitcnt lgkmcnt(1)
	;;#ASMSTART
	
             v_fmac_f32 v12, v208, v192 
             
	;;#ASMEND
	;;#ASMSTART
	
             v_fmac_f32 v13, v208, v193 
             
	;;#ASMEND
	;; [unrolled: 5-line block ×16, first 2 shown]
	ds_load_b128 v[192:195], v166 offset:30720
	;;#ASMSTART
	
             v_fmac_f32 v16, v208, v196 
             
	;;#ASMEND
	;;#ASMSTART
	
             v_fmac_f32 v17, v208, v197 
             
	;;#ASMEND
	;; [unrolled: 5-line block ×16, first 2 shown]
	ds_load_b128 v[196:199], v166 offset:30976
	ds_load_b128 v[208:211], v165 offset:14592
	s_waitcnt lgkmcnt(2)
	;;#ASMSTART
	
             v_fmac_f32 v112, v180, v192 
             
	;;#ASMEND
	;;#ASMSTART
	
             v_fmac_f32 v113, v180, v193 
             
	;;#ASMEND
	;;#ASMSTART
	
             v_fmac_f32 v114, v180, v194 
             
	;;#ASMEND
	;;#ASMSTART
	
             v_fmac_f32 v115, v180, v195 
             
	;;#ASMEND
	;;#ASMSTART
	
             v_fmac_f32 v84, v181, v192 
             
	;;#ASMEND
	;;#ASMSTART
	
             v_fmac_f32 v85, v181, v193 
             
	;;#ASMEND
	;;#ASMSTART
	
             v_fmac_f32 v86, v181, v194 
             
	;;#ASMEND
	;;#ASMSTART
	
             v_fmac_f32 v87, v181, v195 
             
	;;#ASMEND
	;;#ASMSTART
	
             v_fmac_f32 v80, v182, v192 
             
	;;#ASMEND
	;;#ASMSTART
	
             v_fmac_f32 v81, v182, v193 
             
	;;#ASMEND
	;;#ASMSTART
	
             v_fmac_f32 v82, v182, v194 
             
	;;#ASMEND
	;;#ASMSTART
	
             v_fmac_f32 v83, v182, v195 
             
	;;#ASMEND
	;;#ASMSTART
	
             v_fmac_f32 v52, v183, v192 
             
	;;#ASMEND
	;;#ASMSTART
	
             v_fmac_f32 v53, v183, v193 
             
	;;#ASMEND
	;;#ASMSTART
	
             v_fmac_f32 v54, v183, v194 
             
	;;#ASMEND
	;;#ASMSTART
	
             v_fmac_f32 v55, v183, v195 
             
	;;#ASMEND
	s_waitcnt lgkmcnt(1)
	;;#ASMSTART
	
             v_fmac_f32 v100, v180, v196 
             
	;;#ASMEND
	;;#ASMSTART
	
             v_fmac_f32 v101, v180, v197 
             
	;;#ASMEND
	;; [unrolled: 5-line block ×16, first 2 shown]
	ds_load_b128 v[180:183], v165 offset:14848
	s_waitcnt lgkmcnt(1)
	;;#ASMSTART
	
             v_fmac_f32 v12, v208, v192 
             
	;;#ASMEND
	;;#ASMSTART
	
             v_fmac_f32 v13, v208, v193 
             
	;;#ASMEND
	;; [unrolled: 5-line block ×16, first 2 shown]
	ds_load_b128 v[192:195], v166 offset:31232
	;;#ASMSTART
	
             v_fmac_f32 v16, v208, v196 
             
	;;#ASMEND
	;;#ASMSTART
	
             v_fmac_f32 v17, v208, v197 
             
	;;#ASMEND
	;; [unrolled: 5-line block ×16, first 2 shown]
	ds_load_b128 v[196:199], v166 offset:31488
	ds_load_b128 v[208:211], v165 offset:15104
	s_waitcnt lgkmcnt(2)
	;;#ASMSTART
	
             v_fmac_f32 v112, v180, v192 
             
	;;#ASMEND
	;;#ASMSTART
	
             v_fmac_f32 v113, v180, v193 
             
	;;#ASMEND
	;; [unrolled: 5-line block ×16, first 2 shown]
	s_waitcnt lgkmcnt(1)
	;;#ASMSTART
	
             v_fmac_f32 v100, v180, v196 
             
	;;#ASMEND
	;;#ASMSTART
	
             v_fmac_f32 v101, v180, v197 
             
	;;#ASMEND
	;; [unrolled: 5-line block ×16, first 2 shown]
	ds_load_b128 v[180:183], v165 offset:15360
	s_waitcnt lgkmcnt(1)
	;;#ASMSTART
	
             v_fmac_f32 v12, v208, v192 
             
	;;#ASMEND
	;;#ASMSTART
	
             v_fmac_f32 v13, v208, v193 
             
	;;#ASMEND
	;; [unrolled: 5-line block ×16, first 2 shown]
	ds_load_b128 v[192:195], v166 offset:31744
	;;#ASMSTART
	
             v_fmac_f32 v16, v208, v196 
             
	;;#ASMEND
	;;#ASMSTART
	
             v_fmac_f32 v17, v208, v197 
             
	;;#ASMEND
	;; [unrolled: 5-line block ×16, first 2 shown]
	ds_load_b128 v[196:199], v166 offset:32000
	ds_load_b128 v[208:211], v165 offset:15616
	s_waitcnt lgkmcnt(2)
	;;#ASMSTART
	
             v_fmac_f32 v112, v180, v192 
             
	;;#ASMEND
	;;#ASMSTART
	
             v_fmac_f32 v113, v180, v193 
             
	;;#ASMEND
	;; [unrolled: 5-line block ×16, first 2 shown]
	s_waitcnt lgkmcnt(1)
	;;#ASMSTART
	
             v_fmac_f32 v100, v180, v196 
             
	;;#ASMEND
	;;#ASMSTART
	
             v_fmac_f32 v101, v180, v197 
             
	;;#ASMEND
	;; [unrolled: 5-line block ×16, first 2 shown]
	ds_load_b128 v[180:183], v165 offset:15872
	s_waitcnt lgkmcnt(1)
	;;#ASMSTART
	
             v_fmac_f32 v12, v208, v192 
             
	;;#ASMEND
	;;#ASMSTART
	
             v_fmac_f32 v13, v208, v193 
             
	;;#ASMEND
	;; [unrolled: 5-line block ×16, first 2 shown]
	ds_load_b128 v[192:195], v166 offset:32256
	;;#ASMSTART
	
             v_fmac_f32 v16, v208, v196 
             
	;;#ASMEND
	;;#ASMSTART
	
             v_fmac_f32 v17, v208, v197 
             
	;;#ASMEND
	;;#ASMSTART
	
             v_fmac_f32 v18, v208, v198 
             
	;;#ASMEND
	;;#ASMSTART
	
             v_fmac_f32 v19, v208, v199 
             
	;;#ASMEND
	;;#ASMSTART
	
             v_fmac_f32 v20, v209, v196 
             
	;;#ASMEND
	;;#ASMSTART
	
             v_fmac_f32 v21, v209, v197 
             
	;;#ASMEND
	;;#ASMSTART
	
             v_fmac_f32 v22, v209, v198 
             
	;;#ASMEND
	;;#ASMSTART
	
             v_fmac_f32 v23, v209, v199 
             
	;;#ASMEND
	;;#ASMSTART
	
             v_fmac_f32 v32, v210, v196 
             
	;;#ASMEND
	;;#ASMSTART
	
             v_fmac_f32 v33, v210, v197 
             
	;;#ASMEND
	;;#ASMSTART
	
             v_fmac_f32 v34, v210, v198 
             
	;;#ASMEND
	;;#ASMSTART
	
             v_fmac_f32 v35, v210, v199 
             
	;;#ASMEND
	;;#ASMSTART
	
             v_fmac_f32 v36, v211, v196 
             
	;;#ASMEND
	;;#ASMSTART
	
             v_fmac_f32 v37, v211, v197 
             
	;;#ASMEND
	;;#ASMSTART
	
             v_fmac_f32 v38, v211, v198 
             
	;;#ASMEND
	;;#ASMSTART
	
             v_fmac_f32 v39, v211, v199 
             
	;;#ASMEND
	ds_load_b128 v[196:199], v166 offset:32512
	ds_load_b128 v[208:211], v165 offset:16128
	v_cmp_ge_i32_e32 vcc_lo, s8, v179
	s_waitcnt lgkmcnt(2)
	;;#ASMSTART
	
             v_fmac_f32 v112, v180, v192 
             
	;;#ASMEND
	;;#ASMSTART
	
             v_fmac_f32 v113, v180, v193 
             
	;;#ASMEND
	;; [unrolled: 5-line block ×4, first 2 shown]
	s_or_b32 s3, vcc_lo, s3
	;;#ASMSTART
	
             v_fmac_f32 v84, v181, v192 
             
	;;#ASMEND
	;;#ASMSTART
	
             v_fmac_f32 v85, v181, v193 
             
	;;#ASMEND
	;; [unrolled: 5-line block ×12, first 2 shown]
	s_waitcnt lgkmcnt(1)
	;;#ASMSTART
	
             v_fmac_f32 v100, v180, v196 
             
	;;#ASMEND
	;;#ASMSTART
	
             v_fmac_f32 v101, v180, v197 
             
	;;#ASMEND
	;; [unrolled: 5-line block ×16, first 2 shown]
	s_waitcnt lgkmcnt(0)
	;;#ASMSTART
	
             v_fmac_f32 v12, v208, v192 
             
	;;#ASMEND
	;;#ASMSTART
	
             v_fmac_f32 v13, v208, v193 
             
	;;#ASMEND
	;; [unrolled: 5-line block ×32, first 2 shown]
	ds_store_b128 v167, v[116:119]
	ds_store_b128 v167, v[128:131] offset:512
	ds_store_b128 v167, v[132:135] offset:16384
	ds_store_b128 v176, v[144:147] offset:512
	s_and_not1_b32 exec_lo, exec_lo, s3
	s_cbranch_execnz .LBB3_9
; %bb.26:
	s_or_b32 exec_lo, exec_lo, s3
	s_waitcnt lgkmcnt(0)
	s_barrier
	buffer_gl0_inv
	ds_load_b128 v[0:3], v165
	ds_load_b128 v[6:9], v166 offset:16384
	ds_load_b128 v[116:119], v166 offset:16640
	;; [unrolled: 1-line block ×3, first 2 shown]
	s_waitcnt lgkmcnt(2)
	;;#ASMSTART
	
             v_fmac_f32 v112, v0, v6 
             
	;;#ASMEND
	;;#ASMSTART
	
             v_fmac_f32 v113, v0, v7 
             
	;;#ASMEND
	;; [unrolled: 5-line block ×16, first 2 shown]
	s_waitcnt lgkmcnt(1)
	;;#ASMSTART
	
             v_fmac_f32 v100, v0, v116 
             
	;;#ASMEND
	;;#ASMSTART
	
             v_fmac_f32 v101, v0, v117 
             
	;;#ASMEND
	;; [unrolled: 5-line block ×16, first 2 shown]
	ds_load_b128 v[0:3], v165 offset:512
	s_waitcnt lgkmcnt(1)
	;;#ASMSTART
	
             v_fmac_f32 v12, v128, v6 
             
	;;#ASMEND
	;;#ASMSTART
	
             v_fmac_f32 v13, v128, v7 
             
	;;#ASMEND
	;; [unrolled: 5-line block ×16, first 2 shown]
	ds_load_b128 v[6:9], v166 offset:16896
	;;#ASMSTART
	
             v_fmac_f32 v16, v128, v116 
             
	;;#ASMEND
	;;#ASMSTART
	
             v_fmac_f32 v17, v128, v117 
             
	;;#ASMEND
	;; [unrolled: 5-line block ×16, first 2 shown]
	ds_load_b128 v[116:119], v166 offset:17152
	ds_load_b128 v[128:131], v165 offset:768
	s_waitcnt lgkmcnt(2)
	;;#ASMSTART
	
             v_fmac_f32 v112, v0, v6 
             
	;;#ASMEND
	;;#ASMSTART
	
             v_fmac_f32 v113, v0, v7 
             
	;;#ASMEND
	;; [unrolled: 5-line block ×16, first 2 shown]
	s_waitcnt lgkmcnt(1)
	;;#ASMSTART
	
             v_fmac_f32 v100, v0, v116 
             
	;;#ASMEND
	;;#ASMSTART
	
             v_fmac_f32 v101, v0, v117 
             
	;;#ASMEND
	;; [unrolled: 5-line block ×16, first 2 shown]
	ds_load_b128 v[0:3], v165 offset:1024
	s_waitcnt lgkmcnt(1)
	;;#ASMSTART
	
             v_fmac_f32 v12, v128, v6 
             
	;;#ASMEND
	;;#ASMSTART
	
             v_fmac_f32 v13, v128, v7 
             
	;;#ASMEND
	;; [unrolled: 5-line block ×16, first 2 shown]
	ds_load_b128 v[6:9], v166 offset:17408
	;;#ASMSTART
	
             v_fmac_f32 v16, v128, v116 
             
	;;#ASMEND
	;;#ASMSTART
	
             v_fmac_f32 v17, v128, v117 
             
	;;#ASMEND
	;; [unrolled: 5-line block ×16, first 2 shown]
	ds_load_b128 v[116:119], v166 offset:17664
	ds_load_b128 v[128:131], v165 offset:1280
	s_waitcnt lgkmcnt(2)
	;;#ASMSTART
	
             v_fmac_f32 v112, v0, v6 
             
	;;#ASMEND
	;;#ASMSTART
	
             v_fmac_f32 v113, v0, v7 
             
	;;#ASMEND
	;; [unrolled: 5-line block ×16, first 2 shown]
	s_waitcnt lgkmcnt(1)
	;;#ASMSTART
	
             v_fmac_f32 v100, v0, v116 
             
	;;#ASMEND
	;;#ASMSTART
	
             v_fmac_f32 v101, v0, v117 
             
	;;#ASMEND
	;; [unrolled: 5-line block ×16, first 2 shown]
	ds_load_b128 v[0:3], v165 offset:1536
	s_waitcnt lgkmcnt(1)
	;;#ASMSTART
	
             v_fmac_f32 v12, v128, v6 
             
	;;#ASMEND
	;;#ASMSTART
	
             v_fmac_f32 v13, v128, v7 
             
	;;#ASMEND
	;; [unrolled: 5-line block ×16, first 2 shown]
	ds_load_b128 v[6:9], v166 offset:17920
	;;#ASMSTART
	
             v_fmac_f32 v16, v128, v116 
             
	;;#ASMEND
	;;#ASMSTART
	
             v_fmac_f32 v17, v128, v117 
             
	;;#ASMEND
	;; [unrolled: 5-line block ×16, first 2 shown]
	ds_load_b128 v[116:119], v166 offset:18176
	ds_load_b128 v[128:131], v165 offset:1792
	s_waitcnt lgkmcnt(2)
	;;#ASMSTART
	
             v_fmac_f32 v112, v0, v6 
             
	;;#ASMEND
	;;#ASMSTART
	
             v_fmac_f32 v113, v0, v7 
             
	;;#ASMEND
	;; [unrolled: 5-line block ×16, first 2 shown]
	s_waitcnt lgkmcnt(1)
	;;#ASMSTART
	
             v_fmac_f32 v100, v0, v116 
             
	;;#ASMEND
	;;#ASMSTART
	
             v_fmac_f32 v101, v0, v117 
             
	;;#ASMEND
	;; [unrolled: 5-line block ×16, first 2 shown]
	ds_load_b128 v[0:3], v165 offset:2048
	s_waitcnt lgkmcnt(1)
	;;#ASMSTART
	
             v_fmac_f32 v12, v128, v6 
             
	;;#ASMEND
	;;#ASMSTART
	
             v_fmac_f32 v13, v128, v7 
             
	;;#ASMEND
	;; [unrolled: 5-line block ×16, first 2 shown]
	ds_load_b128 v[6:9], v166 offset:18432
	;;#ASMSTART
	
             v_fmac_f32 v16, v128, v116 
             
	;;#ASMEND
	;;#ASMSTART
	
             v_fmac_f32 v17, v128, v117 
             
	;;#ASMEND
	;; [unrolled: 5-line block ×16, first 2 shown]
	ds_load_b128 v[116:119], v166 offset:18688
	ds_load_b128 v[128:131], v165 offset:2304
	s_waitcnt lgkmcnt(2)
	;;#ASMSTART
	
             v_fmac_f32 v112, v0, v6 
             
	;;#ASMEND
	;;#ASMSTART
	
             v_fmac_f32 v113, v0, v7 
             
	;;#ASMEND
	;;#ASMSTART
	
             v_fmac_f32 v114, v0, v8 
             
	;;#ASMEND
	;;#ASMSTART
	
             v_fmac_f32 v115, v0, v9 
             
	;;#ASMEND
	;;#ASMSTART
	
             v_fmac_f32 v84, v1, v6 
             
	;;#ASMEND
	;;#ASMSTART
	
             v_fmac_f32 v85, v1, v7 
             
	;;#ASMEND
	;;#ASMSTART
	
             v_fmac_f32 v86, v1, v8 
             
	;;#ASMEND
	;;#ASMSTART
	
             v_fmac_f32 v87, v1, v9 
             
	;;#ASMEND
	;;#ASMSTART
	
             v_fmac_f32 v80, v2, v6 
             
	;;#ASMEND
	;;#ASMSTART
	
             v_fmac_f32 v81, v2, v7 
             
	;;#ASMEND
	;;#ASMSTART
	
             v_fmac_f32 v82, v2, v8 
             
	;;#ASMEND
	;;#ASMSTART
	
             v_fmac_f32 v83, v2, v9 
             
	;;#ASMEND
	;;#ASMSTART
	
             v_fmac_f32 v52, v3, v6 
             
	;;#ASMEND
	;;#ASMSTART
	
             v_fmac_f32 v53, v3, v7 
             
	;;#ASMEND
	;;#ASMSTART
	
             v_fmac_f32 v54, v3, v8 
             
	;;#ASMEND
	;;#ASMSTART
	
             v_fmac_f32 v55, v3, v9 
             
	;;#ASMEND
	s_waitcnt lgkmcnt(1)
	;;#ASMSTART
	
             v_fmac_f32 v100, v0, v116 
             
	;;#ASMEND
	;;#ASMSTART
	
             v_fmac_f32 v101, v0, v117 
             
	;;#ASMEND
	;; [unrolled: 5-line block ×16, first 2 shown]
	ds_load_b128 v[0:3], v165 offset:2560
	s_waitcnt lgkmcnt(1)
	;;#ASMSTART
	
             v_fmac_f32 v12, v128, v6 
             
	;;#ASMEND
	;;#ASMSTART
	
             v_fmac_f32 v13, v128, v7 
             
	;;#ASMEND
	;; [unrolled: 5-line block ×16, first 2 shown]
	ds_load_b128 v[6:9], v166 offset:18944
	;;#ASMSTART
	
             v_fmac_f32 v16, v128, v116 
             
	;;#ASMEND
	;;#ASMSTART
	
             v_fmac_f32 v17, v128, v117 
             
	;;#ASMEND
	;; [unrolled: 5-line block ×16, first 2 shown]
	ds_load_b128 v[116:119], v166 offset:19200
	ds_load_b128 v[128:131], v165 offset:2816
	s_waitcnt lgkmcnt(2)
	;;#ASMSTART
	
             v_fmac_f32 v112, v0, v6 
             
	;;#ASMEND
	;;#ASMSTART
	
             v_fmac_f32 v113, v0, v7 
             
	;;#ASMEND
	;; [unrolled: 5-line block ×16, first 2 shown]
	s_waitcnt lgkmcnt(1)
	;;#ASMSTART
	
             v_fmac_f32 v100, v0, v116 
             
	;;#ASMEND
	;;#ASMSTART
	
             v_fmac_f32 v101, v0, v117 
             
	;;#ASMEND
	;; [unrolled: 5-line block ×16, first 2 shown]
	ds_load_b128 v[0:3], v165 offset:3072
	s_waitcnt lgkmcnt(1)
	;;#ASMSTART
	
             v_fmac_f32 v12, v128, v6 
             
	;;#ASMEND
	;;#ASMSTART
	
             v_fmac_f32 v13, v128, v7 
             
	;;#ASMEND
	;; [unrolled: 5-line block ×16, first 2 shown]
	ds_load_b128 v[6:9], v166 offset:19456
	;;#ASMSTART
	
             v_fmac_f32 v16, v128, v116 
             
	;;#ASMEND
	;;#ASMSTART
	
             v_fmac_f32 v17, v128, v117 
             
	;;#ASMEND
	;;#ASMSTART
	
             v_fmac_f32 v18, v128, v118 
             
	;;#ASMEND
	;;#ASMSTART
	
             v_fmac_f32 v19, v128, v119 
             
	;;#ASMEND
	;;#ASMSTART
	
             v_fmac_f32 v20, v129, v116 
             
	;;#ASMEND
	;;#ASMSTART
	
             v_fmac_f32 v21, v129, v117 
             
	;;#ASMEND
	;;#ASMSTART
	
             v_fmac_f32 v22, v129, v118 
             
	;;#ASMEND
	;;#ASMSTART
	
             v_fmac_f32 v23, v129, v119 
             
	;;#ASMEND
	;;#ASMSTART
	
             v_fmac_f32 v32, v130, v116 
             
	;;#ASMEND
	;;#ASMSTART
	
             v_fmac_f32 v33, v130, v117 
             
	;;#ASMEND
	;;#ASMSTART
	
             v_fmac_f32 v34, v130, v118 
             
	;;#ASMEND
	;;#ASMSTART
	
             v_fmac_f32 v35, v130, v119 
             
	;;#ASMEND
	;;#ASMSTART
	
             v_fmac_f32 v36, v131, v116 
             
	;;#ASMEND
	;;#ASMSTART
	
             v_fmac_f32 v37, v131, v117 
             
	;;#ASMEND
	;;#ASMSTART
	
             v_fmac_f32 v38, v131, v118 
             
	;;#ASMEND
	;;#ASMSTART
	
             v_fmac_f32 v39, v131, v119 
             
	;;#ASMEND
	ds_load_b128 v[116:119], v166 offset:19712
	ds_load_b128 v[128:131], v165 offset:3328
	s_waitcnt lgkmcnt(2)
	;;#ASMSTART
	
             v_fmac_f32 v112, v0, v6 
             
	;;#ASMEND
	;;#ASMSTART
	
             v_fmac_f32 v113, v0, v7 
             
	;;#ASMEND
	;; [unrolled: 5-line block ×16, first 2 shown]
	s_waitcnt lgkmcnt(1)
	;;#ASMSTART
	
             v_fmac_f32 v100, v0, v116 
             
	;;#ASMEND
	;;#ASMSTART
	
             v_fmac_f32 v101, v0, v117 
             
	;;#ASMEND
	;; [unrolled: 5-line block ×16, first 2 shown]
	ds_load_b128 v[0:3], v165 offset:3584
	s_waitcnt lgkmcnt(1)
	;;#ASMSTART
	
             v_fmac_f32 v12, v128, v6 
             
	;;#ASMEND
	;;#ASMSTART
	
             v_fmac_f32 v13, v128, v7 
             
	;;#ASMEND
	;; [unrolled: 5-line block ×16, first 2 shown]
	ds_load_b128 v[6:9], v166 offset:19968
	;;#ASMSTART
	
             v_fmac_f32 v16, v128, v116 
             
	;;#ASMEND
	;;#ASMSTART
	
             v_fmac_f32 v17, v128, v117 
             
	;;#ASMEND
	;; [unrolled: 5-line block ×16, first 2 shown]
	ds_load_b128 v[116:119], v166 offset:20224
	ds_load_b128 v[128:131], v165 offset:3840
	s_waitcnt lgkmcnt(2)
	;;#ASMSTART
	
             v_fmac_f32 v112, v0, v6 
             
	;;#ASMEND
	;;#ASMSTART
	
             v_fmac_f32 v113, v0, v7 
             
	;;#ASMEND
	;; [unrolled: 5-line block ×16, first 2 shown]
	s_waitcnt lgkmcnt(1)
	;;#ASMSTART
	
             v_fmac_f32 v100, v0, v116 
             
	;;#ASMEND
	;;#ASMSTART
	
             v_fmac_f32 v101, v0, v117 
             
	;;#ASMEND
	;; [unrolled: 5-line block ×16, first 2 shown]
	ds_load_b128 v[0:3], v165 offset:4096
	s_waitcnt lgkmcnt(1)
	;;#ASMSTART
	
             v_fmac_f32 v12, v128, v6 
             
	;;#ASMEND
	;;#ASMSTART
	
             v_fmac_f32 v13, v128, v7 
             
	;;#ASMEND
	;; [unrolled: 5-line block ×16, first 2 shown]
	ds_load_b128 v[6:9], v166 offset:20480
	;;#ASMSTART
	
             v_fmac_f32 v16, v128, v116 
             
	;;#ASMEND
	;;#ASMSTART
	
             v_fmac_f32 v17, v128, v117 
             
	;;#ASMEND
	;; [unrolled: 5-line block ×16, first 2 shown]
	ds_load_b128 v[116:119], v166 offset:20736
	ds_load_b128 v[128:131], v165 offset:4352
	s_waitcnt lgkmcnt(2)
	;;#ASMSTART
	
             v_fmac_f32 v112, v0, v6 
             
	;;#ASMEND
	;;#ASMSTART
	
             v_fmac_f32 v113, v0, v7 
             
	;;#ASMEND
	;; [unrolled: 5-line block ×16, first 2 shown]
	s_waitcnt lgkmcnt(1)
	;;#ASMSTART
	
             v_fmac_f32 v100, v0, v116 
             
	;;#ASMEND
	;;#ASMSTART
	
             v_fmac_f32 v101, v0, v117 
             
	;;#ASMEND
	;; [unrolled: 5-line block ×16, first 2 shown]
	ds_load_b128 v[0:3], v165 offset:4608
	s_waitcnt lgkmcnt(1)
	;;#ASMSTART
	
             v_fmac_f32 v12, v128, v6 
             
	;;#ASMEND
	;;#ASMSTART
	
             v_fmac_f32 v13, v128, v7 
             
	;;#ASMEND
	;; [unrolled: 5-line block ×16, first 2 shown]
	ds_load_b128 v[6:9], v166 offset:20992
	;;#ASMSTART
	
             v_fmac_f32 v16, v128, v116 
             
	;;#ASMEND
	;;#ASMSTART
	
             v_fmac_f32 v17, v128, v117 
             
	;;#ASMEND
	;; [unrolled: 5-line block ×16, first 2 shown]
	ds_load_b128 v[116:119], v166 offset:21248
	ds_load_b128 v[128:131], v165 offset:4864
	s_waitcnt lgkmcnt(2)
	;;#ASMSTART
	
             v_fmac_f32 v112, v0, v6 
             
	;;#ASMEND
	;;#ASMSTART
	
             v_fmac_f32 v113, v0, v7 
             
	;;#ASMEND
	;; [unrolled: 5-line block ×16, first 2 shown]
	s_waitcnt lgkmcnt(1)
	;;#ASMSTART
	
             v_fmac_f32 v100, v0, v116 
             
	;;#ASMEND
	;;#ASMSTART
	
             v_fmac_f32 v101, v0, v117 
             
	;;#ASMEND
	;; [unrolled: 5-line block ×16, first 2 shown]
	ds_load_b128 v[0:3], v165 offset:5120
	s_waitcnt lgkmcnt(1)
	;;#ASMSTART
	
             v_fmac_f32 v12, v128, v6 
             
	;;#ASMEND
	;;#ASMSTART
	
             v_fmac_f32 v13, v128, v7 
             
	;;#ASMEND
	;; [unrolled: 5-line block ×16, first 2 shown]
	ds_load_b128 v[6:9], v166 offset:21504
	;;#ASMSTART
	
             v_fmac_f32 v16, v128, v116 
             
	;;#ASMEND
	;;#ASMSTART
	
             v_fmac_f32 v17, v128, v117 
             
	;;#ASMEND
	;; [unrolled: 5-line block ×16, first 2 shown]
	ds_load_b128 v[116:119], v166 offset:21760
	ds_load_b128 v[128:131], v165 offset:5376
	s_waitcnt lgkmcnt(2)
	;;#ASMSTART
	
             v_fmac_f32 v112, v0, v6 
             
	;;#ASMEND
	;;#ASMSTART
	
             v_fmac_f32 v113, v0, v7 
             
	;;#ASMEND
	;; [unrolled: 5-line block ×16, first 2 shown]
	s_waitcnt lgkmcnt(1)
	;;#ASMSTART
	
             v_fmac_f32 v100, v0, v116 
             
	;;#ASMEND
	;;#ASMSTART
	
             v_fmac_f32 v101, v0, v117 
             
	;;#ASMEND
	;; [unrolled: 5-line block ×16, first 2 shown]
	ds_load_b128 v[0:3], v165 offset:5632
	s_waitcnt lgkmcnt(1)
	;;#ASMSTART
	
             v_fmac_f32 v12, v128, v6 
             
	;;#ASMEND
	;;#ASMSTART
	
             v_fmac_f32 v13, v128, v7 
             
	;;#ASMEND
	;; [unrolled: 5-line block ×16, first 2 shown]
	ds_load_b128 v[6:9], v166 offset:22016
	;;#ASMSTART
	
             v_fmac_f32 v16, v128, v116 
             
	;;#ASMEND
	;;#ASMSTART
	
             v_fmac_f32 v17, v128, v117 
             
	;;#ASMEND
	;; [unrolled: 5-line block ×16, first 2 shown]
	ds_load_b128 v[116:119], v166 offset:22272
	ds_load_b128 v[128:131], v165 offset:5888
	s_waitcnt lgkmcnt(2)
	;;#ASMSTART
	
             v_fmac_f32 v112, v0, v6 
             
	;;#ASMEND
	;;#ASMSTART
	
             v_fmac_f32 v113, v0, v7 
             
	;;#ASMEND
	;; [unrolled: 5-line block ×16, first 2 shown]
	s_waitcnt lgkmcnt(1)
	;;#ASMSTART
	
             v_fmac_f32 v100, v0, v116 
             
	;;#ASMEND
	;;#ASMSTART
	
             v_fmac_f32 v101, v0, v117 
             
	;;#ASMEND
	;; [unrolled: 5-line block ×16, first 2 shown]
	ds_load_b128 v[0:3], v165 offset:6144
	s_waitcnt lgkmcnt(1)
	;;#ASMSTART
	
             v_fmac_f32 v12, v128, v6 
             
	;;#ASMEND
	;;#ASMSTART
	
             v_fmac_f32 v13, v128, v7 
             
	;;#ASMEND
	;; [unrolled: 5-line block ×16, first 2 shown]
	ds_load_b128 v[6:9], v166 offset:22528
	;;#ASMSTART
	
             v_fmac_f32 v16, v128, v116 
             
	;;#ASMEND
	;;#ASMSTART
	
             v_fmac_f32 v17, v128, v117 
             
	;;#ASMEND
	;; [unrolled: 5-line block ×16, first 2 shown]
	ds_load_b128 v[116:119], v166 offset:22784
	ds_load_b128 v[128:131], v165 offset:6400
	s_waitcnt lgkmcnt(2)
	;;#ASMSTART
	
             v_fmac_f32 v112, v0, v6 
             
	;;#ASMEND
	;;#ASMSTART
	
             v_fmac_f32 v113, v0, v7 
             
	;;#ASMEND
	;; [unrolled: 5-line block ×16, first 2 shown]
	s_waitcnt lgkmcnt(1)
	;;#ASMSTART
	
             v_fmac_f32 v100, v0, v116 
             
	;;#ASMEND
	;;#ASMSTART
	
             v_fmac_f32 v101, v0, v117 
             
	;;#ASMEND
	;; [unrolled: 5-line block ×16, first 2 shown]
	ds_load_b128 v[0:3], v165 offset:6656
	s_waitcnt lgkmcnt(1)
	;;#ASMSTART
	
             v_fmac_f32 v12, v128, v6 
             
	;;#ASMEND
	;;#ASMSTART
	
             v_fmac_f32 v13, v128, v7 
             
	;;#ASMEND
	;; [unrolled: 5-line block ×16, first 2 shown]
	ds_load_b128 v[6:9], v166 offset:23040
	;;#ASMSTART
	
             v_fmac_f32 v16, v128, v116 
             
	;;#ASMEND
	;;#ASMSTART
	
             v_fmac_f32 v17, v128, v117 
             
	;;#ASMEND
	;; [unrolled: 5-line block ×16, first 2 shown]
	ds_load_b128 v[116:119], v166 offset:23296
	ds_load_b128 v[128:131], v165 offset:6912
	s_waitcnt lgkmcnt(2)
	;;#ASMSTART
	
             v_fmac_f32 v112, v0, v6 
             
	;;#ASMEND
	;;#ASMSTART
	
             v_fmac_f32 v113, v0, v7 
             
	;;#ASMEND
	;; [unrolled: 5-line block ×16, first 2 shown]
	s_waitcnt lgkmcnt(1)
	;;#ASMSTART
	
             v_fmac_f32 v100, v0, v116 
             
	;;#ASMEND
	;;#ASMSTART
	
             v_fmac_f32 v101, v0, v117 
             
	;;#ASMEND
	;; [unrolled: 5-line block ×16, first 2 shown]
	ds_load_b128 v[0:3], v165 offset:7168
	s_waitcnt lgkmcnt(1)
	;;#ASMSTART
	
             v_fmac_f32 v12, v128, v6 
             
	;;#ASMEND
	;;#ASMSTART
	
             v_fmac_f32 v13, v128, v7 
             
	;;#ASMEND
	;;#ASMSTART
	
             v_fmac_f32 v14, v128, v8 
             
	;;#ASMEND
	;;#ASMSTART
	
             v_fmac_f32 v15, v128, v9 
             
	;;#ASMEND
	;;#ASMSTART
	
             v_fmac_f32 v24, v129, v6 
             
	;;#ASMEND
	;;#ASMSTART
	
             v_fmac_f32 v25, v129, v7 
             
	;;#ASMEND
	;;#ASMSTART
	
             v_fmac_f32 v26, v129, v8 
             
	;;#ASMEND
	;;#ASMSTART
	
             v_fmac_f32 v27, v129, v9 
             
	;;#ASMEND
	;;#ASMSTART
	
             v_fmac_f32 v28, v130, v6 
             
	;;#ASMEND
	;;#ASMSTART
	
             v_fmac_f32 v29, v130, v7 
             
	;;#ASMEND
	;;#ASMSTART
	
             v_fmac_f32 v30, v130, v8 
             
	;;#ASMEND
	;;#ASMSTART
	
             v_fmac_f32 v31, v130, v9 
             
	;;#ASMEND
	;;#ASMSTART
	
             v_fmac_f32 v48, v131, v6 
             
	;;#ASMEND
	;;#ASMSTART
	
             v_fmac_f32 v49, v131, v7 
             
	;;#ASMEND
	;;#ASMSTART
	
             v_fmac_f32 v50, v131, v8 
             
	;;#ASMEND
	;;#ASMSTART
	
             v_fmac_f32 v51, v131, v9 
             
	;;#ASMEND
	ds_load_b128 v[6:9], v166 offset:23552
	;;#ASMSTART
	
             v_fmac_f32 v16, v128, v116 
             
	;;#ASMEND
	;;#ASMSTART
	
             v_fmac_f32 v17, v128, v117 
             
	;;#ASMEND
	;; [unrolled: 5-line block ×16, first 2 shown]
	ds_load_b128 v[116:119], v166 offset:23808
	ds_load_b128 v[128:131], v165 offset:7424
	s_waitcnt lgkmcnt(2)
	;;#ASMSTART
	
             v_fmac_f32 v112, v0, v6 
             
	;;#ASMEND
	;;#ASMSTART
	
             v_fmac_f32 v113, v0, v7 
             
	;;#ASMEND
	;; [unrolled: 5-line block ×16, first 2 shown]
	s_waitcnt lgkmcnt(1)
	;;#ASMSTART
	
             v_fmac_f32 v100, v0, v116 
             
	;;#ASMEND
	;;#ASMSTART
	
             v_fmac_f32 v101, v0, v117 
             
	;;#ASMEND
	;; [unrolled: 5-line block ×16, first 2 shown]
	ds_load_b128 v[0:3], v165 offset:7680
	s_waitcnt lgkmcnt(1)
	;;#ASMSTART
	
             v_fmac_f32 v12, v128, v6 
             
	;;#ASMEND
	;;#ASMSTART
	
             v_fmac_f32 v13, v128, v7 
             
	;;#ASMEND
	;; [unrolled: 5-line block ×16, first 2 shown]
	ds_load_b128 v[6:9], v166 offset:24064
	;;#ASMSTART
	
             v_fmac_f32 v16, v128, v116 
             
	;;#ASMEND
	;;#ASMSTART
	
             v_fmac_f32 v17, v128, v117 
             
	;;#ASMEND
	;; [unrolled: 5-line block ×16, first 2 shown]
	ds_load_b128 v[116:119], v166 offset:24320
	ds_load_b128 v[128:131], v165 offset:7936
	s_waitcnt lgkmcnt(2)
	;;#ASMSTART
	
             v_fmac_f32 v112, v0, v6 
             
	;;#ASMEND
	;;#ASMSTART
	
             v_fmac_f32 v113, v0, v7 
             
	;;#ASMEND
	;; [unrolled: 5-line block ×16, first 2 shown]
	s_waitcnt lgkmcnt(1)
	;;#ASMSTART
	
             v_fmac_f32 v100, v0, v116 
             
	;;#ASMEND
	;;#ASMSTART
	
             v_fmac_f32 v101, v0, v117 
             
	;;#ASMEND
	;; [unrolled: 5-line block ×16, first 2 shown]
	s_waitcnt lgkmcnt(0)
	;;#ASMSTART
	
             v_fmac_f32 v12, v128, v6 
             
	;;#ASMEND
	;;#ASMSTART
	
             v_fmac_f32 v13, v128, v7 
             
	;;#ASMEND
	;;#ASMSTART
	
             v_fmac_f32 v14, v128, v8 
             
	;;#ASMEND
	;;#ASMSTART
	
             v_fmac_f32 v15, v128, v9 
             
	;;#ASMEND
	;;#ASMSTART
	
             v_fmac_f32 v24, v129, v6 
             
	;;#ASMEND
	;;#ASMSTART
	
             v_fmac_f32 v25, v129, v7 
             
	;;#ASMEND
	;;#ASMSTART
	
             v_fmac_f32 v26, v129, v8 
             
	;;#ASMEND
	;;#ASMSTART
	
             v_fmac_f32 v27, v129, v9 
             
	;;#ASMEND
	;;#ASMSTART
	
             v_fmac_f32 v28, v130, v6 
             
	;;#ASMEND
	;;#ASMSTART
	
             v_fmac_f32 v29, v130, v7 
             
	;;#ASMEND
	;;#ASMSTART
	
             v_fmac_f32 v30, v130, v8 
             
	;;#ASMEND
	;;#ASMSTART
	
             v_fmac_f32 v31, v130, v9 
             
	;;#ASMEND
	;;#ASMSTART
	
             v_fmac_f32 v48, v131, v6 
             
	;;#ASMEND
	;;#ASMSTART
	
             v_fmac_f32 v49, v131, v7 
             
	;;#ASMEND
	;;#ASMSTART
	
             v_fmac_f32 v50, v131, v8 
             
	;;#ASMEND
	;;#ASMSTART
	
             v_fmac_f32 v51, v131, v9 
             
	;;#ASMEND
	;;#ASMSTART
	
             v_fmac_f32 v16, v128, v116 
             
	;;#ASMEND
	;;#ASMSTART
	
             v_fmac_f32 v17, v128, v117 
             
	;;#ASMEND
	;;#ASMSTART
	
             v_fmac_f32 v18, v128, v118 
             
	;;#ASMEND
	;;#ASMSTART
	
             v_fmac_f32 v19, v128, v119 
             
	;;#ASMEND
	;;#ASMSTART
	
             v_fmac_f32 v20, v129, v116 
             
	;;#ASMEND
	;;#ASMSTART
	
             v_fmac_f32 v21, v129, v117 
             
	;;#ASMEND
	;;#ASMSTART
	
             v_fmac_f32 v22, v129, v118 
             
	;;#ASMEND
	;;#ASMSTART
	
             v_fmac_f32 v23, v129, v119 
             
	;;#ASMEND
	;;#ASMSTART
	
             v_fmac_f32 v32, v130, v116 
             
	;;#ASMEND
	;;#ASMSTART
	
             v_fmac_f32 v33, v130, v117 
             
	;;#ASMEND
	;;#ASMSTART
	
             v_fmac_f32 v34, v130, v118 
             
	;;#ASMEND
	;;#ASMSTART
	
             v_fmac_f32 v35, v130, v119 
             
	;;#ASMEND
	;;#ASMSTART
	
             v_fmac_f32 v36, v131, v116 
             
	;;#ASMEND
	;;#ASMSTART
	
             v_fmac_f32 v37, v131, v117 
             
	;;#ASMEND
	;;#ASMSTART
	
             v_fmac_f32 v38, v131, v118 
             
	;;#ASMEND
	;;#ASMSTART
	
             v_fmac_f32 v39, v131, v119 
             
	;;#ASMEND
	flat_load_b32 v0, v[10:11] offset:8
	v_add_nc_u32_e32 v1, s1, v164
	v_dual_mov_b32 v7, 0x31004000 :: v_dual_lshlrev_b32 v6, 2, v148
	s_mov_b32 s1, exec_lo
	s_waitcnt vmcnt(0) lgkmcnt(0)
	s_delay_alu instid0(VALU_DEP_2) | instskip(NEXT) | instid1(VALU_DEP_1)
	v_mul_lo_u32 v0, v0, v1
	v_add3_u32 v0, v151, s2, v0
	s_delay_alu instid0(VALU_DEP_1)
	v_lshlrev_b32_e32 v1, 2, v0
.LBB3_27:                               ; =>This Inner Loop Header: Depth=1
	v_readfirstlane_b32 s4, v4
	v_readfirstlane_b32 s5, v5
	;; [unrolled: 1-line block ×4, first 2 shown]
	s_delay_alu instid0(VALU_DEP_3) | instskip(NEXT) | instid1(VALU_DEP_2)
	v_cmp_eq_u64_e32 vcc_lo, s[4:5], v[4:5]
	v_cmp_eq_u64_e64 s0, s[6:7], v[6:7]
	s_delay_alu instid0(VALU_DEP_1) | instskip(NEXT) | instid1(SALU_CYCLE_1)
	s_and_b32 s0, vcc_lo, s0
	s_and_saveexec_b32 s0, s0
	buffer_store_b128 v[112:115], v1, s[4:7], 0 offen
                                        ; implicit-def: $vgpr112_vgpr113_vgpr114_vgpr115
                                        ; implicit-def: $vgpr1
	s_xor_b32 exec_lo, exec_lo, s0
	s_cbranch_execnz .LBB3_27
; %bb.28:
	s_mov_b32 exec_lo, s1
	v_add_nc_u32_e32 v1, 64, v0
	s_mov_b32 s1, exec_lo
	s_delay_alu instid0(VALU_DEP_1)
	v_lshlrev_b32_e32 v2, 2, v1
.LBB3_29:                               ; =>This Inner Loop Header: Depth=1
	v_readfirstlane_b32 s4, v4
	v_readfirstlane_b32 s5, v5
	;; [unrolled: 1-line block ×4, first 2 shown]
	s_delay_alu instid0(VALU_DEP_3) | instskip(NEXT) | instid1(VALU_DEP_2)
	v_cmp_eq_u64_e32 vcc_lo, s[4:5], v[4:5]
	v_cmp_eq_u64_e64 s0, s[6:7], v[6:7]
	s_delay_alu instid0(VALU_DEP_1) | instskip(NEXT) | instid1(SALU_CYCLE_1)
	s_and_b32 s0, vcc_lo, s0
	s_and_saveexec_b32 s0, s0
	buffer_store_b128 v[100:103], v2, s[4:7], 0 offen
                                        ; implicit-def: $vgpr100_vgpr101_vgpr102_vgpr103
                                        ; implicit-def: $vgpr2
	s_xor_b32 exec_lo, exec_lo, s0
	s_cbranch_execnz .LBB3_29
; %bb.30:
	s_mov_b32 exec_lo, s1
	flat_load_b32 v2, v[10:11] offset:8
	s_mov_b32 s1, exec_lo
	s_waitcnt vmcnt(0) lgkmcnt(0)
	v_add_lshl_u32 v1, v2, v1, 2
.LBB3_31:                               ; =>This Inner Loop Header: Depth=1
	v_readfirstlane_b32 s4, v4
	v_readfirstlane_b32 s5, v5
	;; [unrolled: 1-line block ×4, first 2 shown]
	s_delay_alu instid0(VALU_DEP_3) | instskip(NEXT) | instid1(VALU_DEP_2)
	v_cmp_eq_u64_e32 vcc_lo, s[4:5], v[4:5]
	v_cmp_eq_u64_e64 s0, s[6:7], v[6:7]
	s_delay_alu instid0(VALU_DEP_1) | instskip(NEXT) | instid1(SALU_CYCLE_1)
	s_and_b32 s0, vcc_lo, s0
	s_and_saveexec_b32 s0, s0
	buffer_store_b128 v[96:99], v1, s[4:7], 0 offen
                                        ; implicit-def: $vgpr96_vgpr97_vgpr98_vgpr99
                                        ; implicit-def: $vgpr1
	s_xor_b32 exec_lo, exec_lo, s0
	s_cbranch_execnz .LBB3_31
; %bb.32:
	s_mov_b32 exec_lo, s1
	v_add_nc_u32_e32 v0, v2, v0
	s_mov_b32 s1, exec_lo
	s_delay_alu instid0(VALU_DEP_1)
	v_lshlrev_b32_e32 v1, 2, v0
.LBB3_33:                               ; =>This Inner Loop Header: Depth=1
	v_readfirstlane_b32 s4, v4
	v_readfirstlane_b32 s5, v5
	v_readfirstlane_b32 s6, v6
	v_readfirstlane_b32 s7, v7
	s_delay_alu instid0(VALU_DEP_3) | instskip(NEXT) | instid1(VALU_DEP_2)
	v_cmp_eq_u64_e32 vcc_lo, s[4:5], v[4:5]
	v_cmp_eq_u64_e64 s0, s[6:7], v[6:7]
	s_delay_alu instid0(VALU_DEP_1) | instskip(NEXT) | instid1(SALU_CYCLE_1)
	s_and_b32 s0, vcc_lo, s0
	s_and_saveexec_b32 s0, s0
	buffer_store_b128 v[84:87], v1, s[4:7], 0 offen
                                        ; implicit-def: $vgpr84_vgpr85_vgpr86_vgpr87
                                        ; implicit-def: $vgpr1
	s_xor_b32 exec_lo, exec_lo, s0
	s_cbranch_execnz .LBB3_33
; %bb.34:
	s_mov_b32 exec_lo, s1
	flat_load_b32 v1, v[10:11] offset:8
	s_mov_b32 s1, exec_lo
	s_waitcnt vmcnt(0) lgkmcnt(0)
	v_add_nc_u32_e32 v0, v1, v0
	s_delay_alu instid0(VALU_DEP_1)
	v_lshlrev_b32_e32 v1, 2, v0
.LBB3_35:                               ; =>This Inner Loop Header: Depth=1
	v_readfirstlane_b32 s4, v4
	v_readfirstlane_b32 s5, v5
	;; [unrolled: 1-line block ×4, first 2 shown]
	s_delay_alu instid0(VALU_DEP_3) | instskip(NEXT) | instid1(VALU_DEP_2)
	v_cmp_eq_u64_e32 vcc_lo, s[4:5], v[4:5]
	v_cmp_eq_u64_e64 s0, s[6:7], v[6:7]
	s_delay_alu instid0(VALU_DEP_1) | instskip(NEXT) | instid1(SALU_CYCLE_1)
	s_and_b32 s0, vcc_lo, s0
	s_and_saveexec_b32 s0, s0
	buffer_store_b128 v[80:83], v1, s[4:7], 0 offen
                                        ; implicit-def: $vgpr80_vgpr81_vgpr82_vgpr83
                                        ; implicit-def: $vgpr1
	s_xor_b32 exec_lo, exec_lo, s0
	s_cbranch_execnz .LBB3_35
; %bb.36:
	s_mov_b32 exec_lo, s1
	v_add_nc_u32_e32 v1, 64, v0
	s_mov_b32 s1, exec_lo
	s_delay_alu instid0(VALU_DEP_1)
	v_lshlrev_b32_e32 v2, 2, v1
.LBB3_37:                               ; =>This Inner Loop Header: Depth=1
	v_readfirstlane_b32 s4, v4
	v_readfirstlane_b32 s5, v5
	;; [unrolled: 1-line block ×4, first 2 shown]
	s_delay_alu instid0(VALU_DEP_3) | instskip(NEXT) | instid1(VALU_DEP_2)
	v_cmp_eq_u64_e32 vcc_lo, s[4:5], v[4:5]
	v_cmp_eq_u64_e64 s0, s[6:7], v[6:7]
	s_delay_alu instid0(VALU_DEP_1) | instskip(NEXT) | instid1(SALU_CYCLE_1)
	s_and_b32 s0, vcc_lo, s0
	s_and_saveexec_b32 s0, s0
	buffer_store_b128 v[68:71], v2, s[4:7], 0 offen
                                        ; implicit-def: $vgpr68_vgpr69_vgpr70_vgpr71
                                        ; implicit-def: $vgpr2
	s_xor_b32 exec_lo, exec_lo, s0
	s_cbranch_execnz .LBB3_37
; %bb.38:
	s_mov_b32 exec_lo, s1
	flat_load_b32 v2, v[10:11] offset:8
	s_mov_b32 s1, exec_lo
	s_waitcnt vmcnt(0) lgkmcnt(0)
	v_add_lshl_u32 v1, v2, v1, 2
.LBB3_39:                               ; =>This Inner Loop Header: Depth=1
	v_readfirstlane_b32 s4, v4
	v_readfirstlane_b32 s5, v5
	v_readfirstlane_b32 s6, v6
	v_readfirstlane_b32 s7, v7
	s_delay_alu instid0(VALU_DEP_3) | instskip(NEXT) | instid1(VALU_DEP_2)
	v_cmp_eq_u64_e32 vcc_lo, s[4:5], v[4:5]
	v_cmp_eq_u64_e64 s0, s[6:7], v[6:7]
	s_delay_alu instid0(VALU_DEP_1) | instskip(NEXT) | instid1(SALU_CYCLE_1)
	s_and_b32 s0, vcc_lo, s0
	s_and_saveexec_b32 s0, s0
	buffer_store_b128 v[64:67], v1, s[4:7], 0 offen
                                        ; implicit-def: $vgpr64_vgpr65_vgpr66_vgpr67
                                        ; implicit-def: $vgpr1
	s_xor_b32 exec_lo, exec_lo, s0
	s_cbranch_execnz .LBB3_39
; %bb.40:
	s_mov_b32 exec_lo, s1
	v_add_nc_u32_e32 v0, v2, v0
	s_mov_b32 s1, exec_lo
	s_delay_alu instid0(VALU_DEP_1)
	v_lshlrev_b32_e32 v1, 2, v0
.LBB3_41:                               ; =>This Inner Loop Header: Depth=1
	v_readfirstlane_b32 s4, v4
	v_readfirstlane_b32 s5, v5
	;; [unrolled: 1-line block ×4, first 2 shown]
	s_delay_alu instid0(VALU_DEP_3) | instskip(NEXT) | instid1(VALU_DEP_2)
	v_cmp_eq_u64_e32 vcc_lo, s[4:5], v[4:5]
	v_cmp_eq_u64_e64 s0, s[6:7], v[6:7]
	s_delay_alu instid0(VALU_DEP_1) | instskip(NEXT) | instid1(SALU_CYCLE_1)
	s_and_b32 s0, vcc_lo, s0
	s_and_saveexec_b32 s0, s0
	buffer_store_b128 v[52:55], v1, s[4:7], 0 offen
                                        ; implicit-def: $vgpr52_vgpr53_vgpr54_vgpr55
                                        ; implicit-def: $vgpr1
	s_xor_b32 exec_lo, exec_lo, s0
	s_cbranch_execnz .LBB3_41
; %bb.42:
	s_mov_b32 exec_lo, s1
	flat_load_b32 v1, v[10:11] offset:8
	s_mov_b32 s1, exec_lo
	s_waitcnt vmcnt(0) lgkmcnt(0)
	v_lshl_add_u32 v0, v1, 6, v0
	s_delay_alu instid0(VALU_DEP_1)
	v_lshlrev_b32_e32 v1, 2, v0
.LBB3_43:                               ; =>This Inner Loop Header: Depth=1
	v_readfirstlane_b32 s4, v4
	v_readfirstlane_b32 s5, v5
	;; [unrolled: 1-line block ×4, first 2 shown]
	s_delay_alu instid0(VALU_DEP_3) | instskip(NEXT) | instid1(VALU_DEP_2)
	v_cmp_eq_u64_e32 vcc_lo, s[4:5], v[4:5]
	v_cmp_eq_u64_e64 s0, s[6:7], v[6:7]
	s_delay_alu instid0(VALU_DEP_1) | instskip(NEXT) | instid1(SALU_CYCLE_1)
	s_and_b32 s0, vcc_lo, s0
	s_and_saveexec_b32 s0, s0
	buffer_store_b128 v[48:51], v1, s[4:7], 0 offen
                                        ; implicit-def: $vgpr48_vgpr49_vgpr50_vgpr51
                                        ; implicit-def: $vgpr1
	s_xor_b32 exec_lo, exec_lo, s0
	s_cbranch_execnz .LBB3_43
; %bb.44:
	s_mov_b32 exec_lo, s1
	v_add_nc_u32_e32 v0, 64, v0
	s_mov_b32 s1, exec_lo
	s_delay_alu instid0(VALU_DEP_1)
	v_lshlrev_b32_e32 v1, 2, v0
.LBB3_45:                               ; =>This Inner Loop Header: Depth=1
	v_readfirstlane_b32 s4, v4
	v_readfirstlane_b32 s5, v5
	;; [unrolled: 1-line block ×4, first 2 shown]
	s_delay_alu instid0(VALU_DEP_3) | instskip(NEXT) | instid1(VALU_DEP_2)
	v_cmp_eq_u64_e32 vcc_lo, s[4:5], v[4:5]
	v_cmp_eq_u64_e64 s0, s[6:7], v[6:7]
	s_delay_alu instid0(VALU_DEP_1) | instskip(NEXT) | instid1(SALU_CYCLE_1)
	s_and_b32 s0, vcc_lo, s0
	s_and_saveexec_b32 s0, s0
	buffer_store_b128 v[36:39], v1, s[4:7], 0 offen
                                        ; implicit-def: $vgpr36_vgpr37_vgpr38_vgpr39
                                        ; implicit-def: $vgpr1
	s_xor_b32 exec_lo, exec_lo, s0
	s_cbranch_execnz .LBB3_45
; %bb.46:
	s_mov_b32 exec_lo, s1
	flat_load_b32 v1, v[10:11] offset:8
	s_mov_b32 s1, exec_lo
	s_waitcnt vmcnt(0) lgkmcnt(0)
	v_sub_nc_u32_e32 v0, v0, v1
	s_delay_alu instid0(VALU_DEP_1)
	v_lshlrev_b32_e32 v1, 2, v0
.LBB3_47:                               ; =>This Inner Loop Header: Depth=1
	v_readfirstlane_b32 s4, v4
	v_readfirstlane_b32 s5, v5
	;; [unrolled: 1-line block ×4, first 2 shown]
	s_delay_alu instid0(VALU_DEP_3) | instskip(NEXT) | instid1(VALU_DEP_2)
	v_cmp_eq_u64_e32 vcc_lo, s[4:5], v[4:5]
	v_cmp_eq_u64_e64 s0, s[6:7], v[6:7]
	s_delay_alu instid0(VALU_DEP_1) | instskip(NEXT) | instid1(SALU_CYCLE_1)
	s_and_b32 s0, vcc_lo, s0
	s_and_saveexec_b32 s0, s0
	buffer_store_b128 v[32:35], v1, s[4:7], 0 offen
                                        ; implicit-def: $vgpr32_vgpr33_vgpr34_vgpr35
                                        ; implicit-def: $vgpr1
	s_xor_b32 exec_lo, exec_lo, s0
	s_cbranch_execnz .LBB3_47
; %bb.48:
	s_mov_b32 exec_lo, s1
	v_subrev_nc_u32_e32 v0, 64, v0
	s_mov_b32 s1, exec_lo
	s_delay_alu instid0(VALU_DEP_1)
	v_lshlrev_b32_e32 v1, 2, v0
.LBB3_49:                               ; =>This Inner Loop Header: Depth=1
	v_readfirstlane_b32 s4, v4
	v_readfirstlane_b32 s5, v5
	;; [unrolled: 1-line block ×4, first 2 shown]
	s_delay_alu instid0(VALU_DEP_3) | instskip(NEXT) | instid1(VALU_DEP_2)
	v_cmp_eq_u64_e32 vcc_lo, s[4:5], v[4:5]
	v_cmp_eq_u64_e64 s0, s[6:7], v[6:7]
	s_delay_alu instid0(VALU_DEP_1) | instskip(NEXT) | instid1(SALU_CYCLE_1)
	s_and_b32 s0, vcc_lo, s0
	s_and_saveexec_b32 s0, s0
	buffer_store_b128 v[28:31], v1, s[4:7], 0 offen
                                        ; implicit-def: $vgpr28_vgpr29_vgpr30_vgpr31
                                        ; implicit-def: $vgpr1
	s_xor_b32 exec_lo, exec_lo, s0
	s_cbranch_execnz .LBB3_49
; %bb.50:
	s_mov_b32 exec_lo, s1
	flat_load_b32 v1, v[10:11] offset:8
	s_mov_b32 s1, exec_lo
	s_waitcnt vmcnt(0) lgkmcnt(0)
	v_sub_nc_u32_e32 v0, v0, v1
	s_delay_alu instid0(VALU_DEP_1)
	v_lshlrev_b32_e32 v1, 2, v0
.LBB3_51:                               ; =>This Inner Loop Header: Depth=1
	v_readfirstlane_b32 s4, v4
	v_readfirstlane_b32 s5, v5
	;; [unrolled: 1-line block ×4, first 2 shown]
	s_delay_alu instid0(VALU_DEP_3) | instskip(NEXT) | instid1(VALU_DEP_2)
	v_cmp_eq_u64_e32 vcc_lo, s[4:5], v[4:5]
	v_cmp_eq_u64_e64 s0, s[6:7], v[6:7]
	s_delay_alu instid0(VALU_DEP_1) | instskip(NEXT) | instid1(SALU_CYCLE_1)
	s_and_b32 s0, vcc_lo, s0
	s_and_saveexec_b32 s0, s0
	buffer_store_b128 v[24:27], v1, s[4:7], 0 offen
                                        ; implicit-def: $vgpr24_vgpr25_vgpr26_vgpr27
                                        ; implicit-def: $vgpr1
	s_xor_b32 exec_lo, exec_lo, s0
	s_cbranch_execnz .LBB3_51
; %bb.52:
	s_mov_b32 exec_lo, s1
	v_add_nc_u32_e32 v0, 64, v0
	s_mov_b32 s1, exec_lo
	s_delay_alu instid0(VALU_DEP_1)
	v_lshlrev_b32_e32 v1, 2, v0
.LBB3_53:                               ; =>This Inner Loop Header: Depth=1
	v_readfirstlane_b32 s4, v4
	v_readfirstlane_b32 s5, v5
	;; [unrolled: 1-line block ×4, first 2 shown]
	s_delay_alu instid0(VALU_DEP_3) | instskip(NEXT) | instid1(VALU_DEP_2)
	v_cmp_eq_u64_e32 vcc_lo, s[4:5], v[4:5]
	v_cmp_eq_u64_e64 s0, s[6:7], v[6:7]
	s_delay_alu instid0(VALU_DEP_1) | instskip(NEXT) | instid1(SALU_CYCLE_1)
	s_and_b32 s0, vcc_lo, s0
	s_and_saveexec_b32 s0, s0
	buffer_store_b128 v[20:23], v1, s[4:7], 0 offen
                                        ; implicit-def: $vgpr20_vgpr21_vgpr22_vgpr23
                                        ; implicit-def: $vgpr1
	s_xor_b32 exec_lo, exec_lo, s0
	s_cbranch_execnz .LBB3_53
; %bb.54:
	s_mov_b32 exec_lo, s1
	flat_load_b32 v1, v[10:11] offset:8
	s_mov_b32 s1, exec_lo
	s_waitcnt vmcnt(0) lgkmcnt(0)
	v_sub_nc_u32_e32 v0, v0, v1
	s_delay_alu instid0(VALU_DEP_1)
	v_lshlrev_b32_e32 v0, 2, v0
.LBB3_55:                               ; =>This Inner Loop Header: Depth=1
	v_readfirstlane_b32 s4, v4
	v_readfirstlane_b32 s5, v5
	;; [unrolled: 1-line block ×4, first 2 shown]
	s_delay_alu instid0(VALU_DEP_3) | instskip(NEXT) | instid1(VALU_DEP_2)
	v_cmp_eq_u64_e32 vcc_lo, s[4:5], v[4:5]
	v_cmp_eq_u64_e64 s0, s[6:7], v[6:7]
	s_delay_alu instid0(VALU_DEP_1) | instskip(NEXT) | instid1(SALU_CYCLE_1)
	s_and_b32 s0, vcc_lo, s0
	s_and_saveexec_b32 s0, s0
	buffer_store_b128 v[16:19], v0, s[4:7], 0 offen
                                        ; implicit-def: $vgpr16_vgpr17_vgpr18_vgpr19
	s_xor_b32 exec_lo, exec_lo, s0
	s_cbranch_execnz .LBB3_55
; %bb.56:
	s_mov_b32 exec_lo, s1
	v_add_nc_u32_e32 v0, 0xffffff00, v0
	s_mov_b32 s1, exec_lo
.LBB3_57:                               ; =>This Inner Loop Header: Depth=1
	v_readfirstlane_b32 s4, v4
	v_readfirstlane_b32 s5, v5
	;; [unrolled: 1-line block ×4, first 2 shown]
	s_delay_alu instid0(VALU_DEP_3) | instskip(NEXT) | instid1(VALU_DEP_2)
	v_cmp_eq_u64_e32 vcc_lo, s[4:5], v[4:5]
	v_cmp_eq_u64_e64 s0, s[6:7], v[6:7]
	s_delay_alu instid0(VALU_DEP_1) | instskip(NEXT) | instid1(SALU_CYCLE_1)
	s_and_b32 s0, vcc_lo, s0
	s_and_saveexec_b32 s0, s0
	buffer_store_b128 v[12:15], v0, s[4:7], 0 offen
                                        ; implicit-def: $vgpr4_vgpr5_vgpr6_vgpr7
                                        ; implicit-def: $vgpr12_vgpr13_vgpr14_vgpr15
                                        ; implicit-def: $vgpr0
	s_xor_b32 exec_lo, exec_lo, s0
	s_cbranch_execnz .LBB3_57
; %bb.58:
	s_mov_b32 exec_lo, s1
	s_setpc_b64 s[30:31]
.Lfunc_end3:
	.size	_ZN2ck28GridwiseGemmDl_km_kn_mn_v1r3ILi256EfffLNS_25InMemoryDataOperationEnumE0ENS_16TensorDescriptorINS_5TupleIJNS_5EmbedINS3_IJiiEEENS3_IJNS_17integral_constantIiLi1EEEiEEELb0EEENS_7UnMergeINS3_IJiS7_EEELb0EEENS_11PassThroughIiEEEEENS3_IJNS_8SequenceIJLi0EEEENSG_IJLi2EEEENSG_IJLi1EEEEEEENS3_IJNSG_IJLi1ELi2EEEENSG_IJLi3ELi4EEEENSG_IJLi5EEEEEEENSG_IJLi3ELi5ELi4EEEElEENS2_INS3_IJNS4_IS5_SB_Lb0EEESC_SE_EEENS3_IJSH_SJ_SI_EEESO_SP_lEENS2_INS3_IJSR_SE_SE_EEEST_NS3_IJSL_NSG_IJLi3EEEENSG_IJLi4EEEEEEESM_lEELi128ELi128ELi16ELi1ELi4ELi4ELi1ENSG_IJLi8ELi2EEEES10_NSG_IJLi2ELi1ELi4ELi1EEEENSG_IJLi8ELi1ELi32ELi1EEEENSG_IJLi0ELi3ELi1ELi2EEEES13_NSG_IJLi1ELi1ELi4ELi1EEEES13_S14_S11_S12_S13_S13_S14_S13_S14_NSG_IJLi0ELi1ELi2ELi3ELi4ELi5EEEELi5ELi4EE3RunILb1ELb0EEEvPKfS19_PfS1A_RKNS2_INS3_IJS9_SC_SE_SE_NSA_INS3_IJiNS6_IiLi128EEEEEELb0EEENSD_IS7_EEEEENS3_IJSH_SI_SJ_SW_SN_SX_EEENS3_IJSL_SM_SN_NSG_IJLi6EEEENSG_IJLi7ELi8EEEENSG_IJLi9EEEEEEENSG_IJLi6ELi7ELi8ELi9EEEElEERKNS2_INS3_IJSR_SC_SE_SE_S1D_S1E_EEENS3_IJSH_SJ_SI_SW_SN_SX_EEES1K_S1L_lEERKNS2_INS3_IJSR_SE_SE_NSA_INS3_IJiNS6_IiLi2EEENS6_IiLi64EEEEEELb0EEES1X_EEENS3_IJSH_SJ_SI_SW_SX_EEENS3_IJSL_SW_SX_NSG_IJLi5ELi6ELi7EEEENSG_IJLi8ELi9ELi10EEEEEEENSG_IJLi5ELi6ELi7ELi8ELi9ELi10EEEElEERKNS_31BlockToCTileMap_M00_N00_M01_N01ILi128ELi128ESZ_Lb0EEENS6_IbXT_EEENS6_IbXT0_EEE, .Lfunc_end3-_ZN2ck28GridwiseGemmDl_km_kn_mn_v1r3ILi256EfffLNS_25InMemoryDataOperationEnumE0ENS_16TensorDescriptorINS_5TupleIJNS_5EmbedINS3_IJiiEEENS3_IJNS_17integral_constantIiLi1EEEiEEELb0EEENS_7UnMergeINS3_IJiS7_EEELb0EEENS_11PassThroughIiEEEEENS3_IJNS_8SequenceIJLi0EEEENSG_IJLi2EEEENSG_IJLi1EEEEEEENS3_IJNSG_IJLi1ELi2EEEENSG_IJLi3ELi4EEEENSG_IJLi5EEEEEEENSG_IJLi3ELi5ELi4EEEElEENS2_INS3_IJNS4_IS5_SB_Lb0EEESC_SE_EEENS3_IJSH_SJ_SI_EEESO_SP_lEENS2_INS3_IJSR_SE_SE_EEEST_NS3_IJSL_NSG_IJLi3EEEENSG_IJLi4EEEEEEESM_lEELi128ELi128ELi16ELi1ELi4ELi4ELi1ENSG_IJLi8ELi2EEEES10_NSG_IJLi2ELi1ELi4ELi1EEEENSG_IJLi8ELi1ELi32ELi1EEEENSG_IJLi0ELi3ELi1ELi2EEEES13_NSG_IJLi1ELi1ELi4ELi1EEEES13_S14_S11_S12_S13_S13_S14_S13_S14_NSG_IJLi0ELi1ELi2ELi3ELi4ELi5EEEELi5ELi4EE3RunILb1ELb0EEEvPKfS19_PfS1A_RKNS2_INS3_IJS9_SC_SE_SE_NSA_INS3_IJiNS6_IiLi128EEEEEELb0EEENSD_IS7_EEEEENS3_IJSH_SI_SJ_SW_SN_SX_EEENS3_IJSL_SM_SN_NSG_IJLi6EEEENSG_IJLi7ELi8EEEENSG_IJLi9EEEEEEENSG_IJLi6ELi7ELi8ELi9EEEElEERKNS2_INS3_IJSR_SC_SE_SE_S1D_S1E_EEENS3_IJSH_SJ_SI_SW_SN_SX_EEES1K_S1L_lEERKNS2_INS3_IJSR_SE_SE_NSA_INS3_IJiNS6_IiLi2EEENS6_IiLi64EEEEEELb0EEES1X_EEENS3_IJSH_SJ_SI_SW_SX_EEENS3_IJSL_SW_SX_NSG_IJLi5ELi6ELi7EEEENSG_IJLi8ELi9ELi10EEEEEEENSG_IJLi5ELi6ELi7ELi8ELi9ELi10EEEElEERKNS_31BlockToCTileMap_M00_N00_M01_N01ILi128ELi128ESZ_Lb0EEENS6_IbXT_EEENS6_IbXT0_EEE
                                        ; -- End function
	.section	.AMDGPU.csdata,"",@progbits
; Function info:
; codeLenInByte = 66876
; NumSgprs: 34
; NumVgprs: 212
; ScratchSize: 0
; MemoryBound: 0
	.section	.text._ZN2ck19kernel_gemm_dl_v1r3INS_28GridwiseGemmDl_km_kn_mn_v1r3ILi256EfffLNS_25InMemoryDataOperationEnumE0ENS_16TensorDescriptorINS_5TupleIJNS_5EmbedINS4_IJiiEEENS4_IJNS_17integral_constantIiLi1EEEiEEELb0EEENS_7UnMergeINS4_IJiS8_EEELb0EEENS_11PassThroughIiEEEEENS4_IJNS_8SequenceIJLi0EEEENSH_IJLi2EEEENSH_IJLi1EEEEEEENS4_IJNSH_IJLi1ELi2EEEENSH_IJLi3ELi4EEEENSH_IJLi5EEEEEEENSH_IJLi3ELi5ELi4EEEElEENS3_INS4_IJNS5_IS6_SC_Lb0EEESD_SF_EEENS4_IJSI_SK_SJ_EEESP_SQ_lEENS3_INS4_IJSS_SF_SF_EEESU_NS4_IJSM_NSH_IJLi3EEEENSH_IJLi4EEEEEEESN_lEELi128ELi128ELi16ELi1ELi4ELi4ELi1ENSH_IJLi8ELi2EEEES11_NSH_IJLi2ELi1ELi4ELi1EEEENSH_IJLi8ELi1ELi32ELi1EEEENSH_IJLi0ELi3ELi1ELi2EEEES14_NSH_IJLi1ELi1ELi4ELi1EEEES14_S15_S12_S13_S14_S14_S15_S14_S15_NSH_IJLi0ELi1ELi2ELi3ELi4ELi5EEEELi5ELi4EEEffNS3_INS4_IJSA_SD_SF_SF_NSB_INS4_IJiNS7_IiLi128EEEEEELb0EEENSE_IS8_EEEEENS4_IJSI_SJ_SK_SX_SO_SY_EEENS4_IJSM_SN_SO_NSH_IJLi6EEEENSH_IJLi7ELi8EEEENSH_IJLi9EEEEEEENSH_IJLi6ELi7ELi8ELi9EEEElEENS3_INS4_IJSS_SD_SF_SF_S1A_S1B_EEENS4_IJSI_SK_SJ_SX_SO_SY_EEES1H_S1I_lEENS3_INS4_IJSS_SF_SF_NSB_INS4_IJiNS7_IiLi2EEENS7_IiLi64EEEEEELb0EEES1Q_EEENS4_IJSI_SK_SJ_SX_SY_EEENS4_IJSM_SX_SY_NSH_IJLi5ELi6ELi7EEEENSH_IJLi8ELi9ELi10EEEEEEENSH_IJLi5ELi6ELi7ELi8ELi9ELi10EEEElEENS_31BlockToCTileMap_M00_N00_M01_N01ILi128ELi128ES10_Lb0EEELb1ELb0EEEvPKT0_S22_PT1_T2_T3_T4_T5_,"axG",@progbits,_ZN2ck19kernel_gemm_dl_v1r3INS_28GridwiseGemmDl_km_kn_mn_v1r3ILi256EfffLNS_25InMemoryDataOperationEnumE0ENS_16TensorDescriptorINS_5TupleIJNS_5EmbedINS4_IJiiEEENS4_IJNS_17integral_constantIiLi1EEEiEEELb0EEENS_7UnMergeINS4_IJiS8_EEELb0EEENS_11PassThroughIiEEEEENS4_IJNS_8SequenceIJLi0EEEENSH_IJLi2EEEENSH_IJLi1EEEEEEENS4_IJNSH_IJLi1ELi2EEEENSH_IJLi3ELi4EEEENSH_IJLi5EEEEEEENSH_IJLi3ELi5ELi4EEEElEENS3_INS4_IJNS5_IS6_SC_Lb0EEESD_SF_EEENS4_IJSI_SK_SJ_EEESP_SQ_lEENS3_INS4_IJSS_SF_SF_EEESU_NS4_IJSM_NSH_IJLi3EEEENSH_IJLi4EEEEEEESN_lEELi128ELi128ELi16ELi1ELi4ELi4ELi1ENSH_IJLi8ELi2EEEES11_NSH_IJLi2ELi1ELi4ELi1EEEENSH_IJLi8ELi1ELi32ELi1EEEENSH_IJLi0ELi3ELi1ELi2EEEES14_NSH_IJLi1ELi1ELi4ELi1EEEES14_S15_S12_S13_S14_S14_S15_S14_S15_NSH_IJLi0ELi1ELi2ELi3ELi4ELi5EEEELi5ELi4EEEffNS3_INS4_IJSA_SD_SF_SF_NSB_INS4_IJiNS7_IiLi128EEEEEELb0EEENSE_IS8_EEEEENS4_IJSI_SJ_SK_SX_SO_SY_EEENS4_IJSM_SN_SO_NSH_IJLi6EEEENSH_IJLi7ELi8EEEENSH_IJLi9EEEEEEENSH_IJLi6ELi7ELi8ELi9EEEElEENS3_INS4_IJSS_SD_SF_SF_S1A_S1B_EEENS4_IJSI_SK_SJ_SX_SO_SY_EEES1H_S1I_lEENS3_INS4_IJSS_SF_SF_NSB_INS4_IJiNS7_IiLi2EEENS7_IiLi64EEEEEELb0EEES1Q_EEENS4_IJSI_SK_SJ_SX_SY_EEENS4_IJSM_SX_SY_NSH_IJLi5ELi6ELi7EEEENSH_IJLi8ELi9ELi10EEEEEEENSH_IJLi5ELi6ELi7ELi8ELi9ELi10EEEElEENS_31BlockToCTileMap_M00_N00_M01_N01ILi128ELi128ES10_Lb0EEELb1ELb0EEEvPKT0_S22_PT1_T2_T3_T4_T5_,comdat
	.protected	_ZN2ck19kernel_gemm_dl_v1r3INS_28GridwiseGemmDl_km_kn_mn_v1r3ILi256EfffLNS_25InMemoryDataOperationEnumE0ENS_16TensorDescriptorINS_5TupleIJNS_5EmbedINS4_IJiiEEENS4_IJNS_17integral_constantIiLi1EEEiEEELb0EEENS_7UnMergeINS4_IJiS8_EEELb0EEENS_11PassThroughIiEEEEENS4_IJNS_8SequenceIJLi0EEEENSH_IJLi2EEEENSH_IJLi1EEEEEEENS4_IJNSH_IJLi1ELi2EEEENSH_IJLi3ELi4EEEENSH_IJLi5EEEEEEENSH_IJLi3ELi5ELi4EEEElEENS3_INS4_IJNS5_IS6_SC_Lb0EEESD_SF_EEENS4_IJSI_SK_SJ_EEESP_SQ_lEENS3_INS4_IJSS_SF_SF_EEESU_NS4_IJSM_NSH_IJLi3EEEENSH_IJLi4EEEEEEESN_lEELi128ELi128ELi16ELi1ELi4ELi4ELi1ENSH_IJLi8ELi2EEEES11_NSH_IJLi2ELi1ELi4ELi1EEEENSH_IJLi8ELi1ELi32ELi1EEEENSH_IJLi0ELi3ELi1ELi2EEEES14_NSH_IJLi1ELi1ELi4ELi1EEEES14_S15_S12_S13_S14_S14_S15_S14_S15_NSH_IJLi0ELi1ELi2ELi3ELi4ELi5EEEELi5ELi4EEEffNS3_INS4_IJSA_SD_SF_SF_NSB_INS4_IJiNS7_IiLi128EEEEEELb0EEENSE_IS8_EEEEENS4_IJSI_SJ_SK_SX_SO_SY_EEENS4_IJSM_SN_SO_NSH_IJLi6EEEENSH_IJLi7ELi8EEEENSH_IJLi9EEEEEEENSH_IJLi6ELi7ELi8ELi9EEEElEENS3_INS4_IJSS_SD_SF_SF_S1A_S1B_EEENS4_IJSI_SK_SJ_SX_SO_SY_EEES1H_S1I_lEENS3_INS4_IJSS_SF_SF_NSB_INS4_IJiNS7_IiLi2EEENS7_IiLi64EEEEEELb0EEES1Q_EEENS4_IJSI_SK_SJ_SX_SY_EEENS4_IJSM_SX_SY_NSH_IJLi5ELi6ELi7EEEENSH_IJLi8ELi9ELi10EEEEEEENSH_IJLi5ELi6ELi7ELi8ELi9ELi10EEEElEENS_31BlockToCTileMap_M00_N00_M01_N01ILi128ELi128ES10_Lb0EEELb1ELb0EEEvPKT0_S22_PT1_T2_T3_T4_T5_ ; -- Begin function _ZN2ck19kernel_gemm_dl_v1r3INS_28GridwiseGemmDl_km_kn_mn_v1r3ILi256EfffLNS_25InMemoryDataOperationEnumE0ENS_16TensorDescriptorINS_5TupleIJNS_5EmbedINS4_IJiiEEENS4_IJNS_17integral_constantIiLi1EEEiEEELb0EEENS_7UnMergeINS4_IJiS8_EEELb0EEENS_11PassThroughIiEEEEENS4_IJNS_8SequenceIJLi0EEEENSH_IJLi2EEEENSH_IJLi1EEEEEEENS4_IJNSH_IJLi1ELi2EEEENSH_IJLi3ELi4EEEENSH_IJLi5EEEEEEENSH_IJLi3ELi5ELi4EEEElEENS3_INS4_IJNS5_IS6_SC_Lb0EEESD_SF_EEENS4_IJSI_SK_SJ_EEESP_SQ_lEENS3_INS4_IJSS_SF_SF_EEESU_NS4_IJSM_NSH_IJLi3EEEENSH_IJLi4EEEEEEESN_lEELi128ELi128ELi16ELi1ELi4ELi4ELi1ENSH_IJLi8ELi2EEEES11_NSH_IJLi2ELi1ELi4ELi1EEEENSH_IJLi8ELi1ELi32ELi1EEEENSH_IJLi0ELi3ELi1ELi2EEEES14_NSH_IJLi1ELi1ELi4ELi1EEEES14_S15_S12_S13_S14_S14_S15_S14_S15_NSH_IJLi0ELi1ELi2ELi3ELi4ELi5EEEELi5ELi4EEEffNS3_INS4_IJSA_SD_SF_SF_NSB_INS4_IJiNS7_IiLi128EEEEEELb0EEENSE_IS8_EEEEENS4_IJSI_SJ_SK_SX_SO_SY_EEENS4_IJSM_SN_SO_NSH_IJLi6EEEENSH_IJLi7ELi8EEEENSH_IJLi9EEEEEEENSH_IJLi6ELi7ELi8ELi9EEEElEENS3_INS4_IJSS_SD_SF_SF_S1A_S1B_EEENS4_IJSI_SK_SJ_SX_SO_SY_EEES1H_S1I_lEENS3_INS4_IJSS_SF_SF_NSB_INS4_IJiNS7_IiLi2EEENS7_IiLi64EEEEEELb0EEES1Q_EEENS4_IJSI_SK_SJ_SX_SY_EEENS4_IJSM_SX_SY_NSH_IJLi5ELi6ELi7EEEENSH_IJLi8ELi9ELi10EEEEEEENSH_IJLi5ELi6ELi7ELi8ELi9ELi10EEEElEENS_31BlockToCTileMap_M00_N00_M01_N01ILi128ELi128ES10_Lb0EEELb1ELb0EEEvPKT0_S22_PT1_T2_T3_T4_T5_
	.globl	_ZN2ck19kernel_gemm_dl_v1r3INS_28GridwiseGemmDl_km_kn_mn_v1r3ILi256EfffLNS_25InMemoryDataOperationEnumE0ENS_16TensorDescriptorINS_5TupleIJNS_5EmbedINS4_IJiiEEENS4_IJNS_17integral_constantIiLi1EEEiEEELb0EEENS_7UnMergeINS4_IJiS8_EEELb0EEENS_11PassThroughIiEEEEENS4_IJNS_8SequenceIJLi0EEEENSH_IJLi2EEEENSH_IJLi1EEEEEEENS4_IJNSH_IJLi1ELi2EEEENSH_IJLi3ELi4EEEENSH_IJLi5EEEEEEENSH_IJLi3ELi5ELi4EEEElEENS3_INS4_IJNS5_IS6_SC_Lb0EEESD_SF_EEENS4_IJSI_SK_SJ_EEESP_SQ_lEENS3_INS4_IJSS_SF_SF_EEESU_NS4_IJSM_NSH_IJLi3EEEENSH_IJLi4EEEEEEESN_lEELi128ELi128ELi16ELi1ELi4ELi4ELi1ENSH_IJLi8ELi2EEEES11_NSH_IJLi2ELi1ELi4ELi1EEEENSH_IJLi8ELi1ELi32ELi1EEEENSH_IJLi0ELi3ELi1ELi2EEEES14_NSH_IJLi1ELi1ELi4ELi1EEEES14_S15_S12_S13_S14_S14_S15_S14_S15_NSH_IJLi0ELi1ELi2ELi3ELi4ELi5EEEELi5ELi4EEEffNS3_INS4_IJSA_SD_SF_SF_NSB_INS4_IJiNS7_IiLi128EEEEEELb0EEENSE_IS8_EEEEENS4_IJSI_SJ_SK_SX_SO_SY_EEENS4_IJSM_SN_SO_NSH_IJLi6EEEENSH_IJLi7ELi8EEEENSH_IJLi9EEEEEEENSH_IJLi6ELi7ELi8ELi9EEEElEENS3_INS4_IJSS_SD_SF_SF_S1A_S1B_EEENS4_IJSI_SK_SJ_SX_SO_SY_EEES1H_S1I_lEENS3_INS4_IJSS_SF_SF_NSB_INS4_IJiNS7_IiLi2EEENS7_IiLi64EEEEEELb0EEES1Q_EEENS4_IJSI_SK_SJ_SX_SY_EEENS4_IJSM_SX_SY_NSH_IJLi5ELi6ELi7EEEENSH_IJLi8ELi9ELi10EEEEEEENSH_IJLi5ELi6ELi7ELi8ELi9ELi10EEEElEENS_31BlockToCTileMap_M00_N00_M01_N01ILi128ELi128ES10_Lb0EEELb1ELb0EEEvPKT0_S22_PT1_T2_T3_T4_T5_
	.p2align	8
	.type	_ZN2ck19kernel_gemm_dl_v1r3INS_28GridwiseGemmDl_km_kn_mn_v1r3ILi256EfffLNS_25InMemoryDataOperationEnumE0ENS_16TensorDescriptorINS_5TupleIJNS_5EmbedINS4_IJiiEEENS4_IJNS_17integral_constantIiLi1EEEiEEELb0EEENS_7UnMergeINS4_IJiS8_EEELb0EEENS_11PassThroughIiEEEEENS4_IJNS_8SequenceIJLi0EEEENSH_IJLi2EEEENSH_IJLi1EEEEEEENS4_IJNSH_IJLi1ELi2EEEENSH_IJLi3ELi4EEEENSH_IJLi5EEEEEEENSH_IJLi3ELi5ELi4EEEElEENS3_INS4_IJNS5_IS6_SC_Lb0EEESD_SF_EEENS4_IJSI_SK_SJ_EEESP_SQ_lEENS3_INS4_IJSS_SF_SF_EEESU_NS4_IJSM_NSH_IJLi3EEEENSH_IJLi4EEEEEEESN_lEELi128ELi128ELi16ELi1ELi4ELi4ELi1ENSH_IJLi8ELi2EEEES11_NSH_IJLi2ELi1ELi4ELi1EEEENSH_IJLi8ELi1ELi32ELi1EEEENSH_IJLi0ELi3ELi1ELi2EEEES14_NSH_IJLi1ELi1ELi4ELi1EEEES14_S15_S12_S13_S14_S14_S15_S14_S15_NSH_IJLi0ELi1ELi2ELi3ELi4ELi5EEEELi5ELi4EEEffNS3_INS4_IJSA_SD_SF_SF_NSB_INS4_IJiNS7_IiLi128EEEEEELb0EEENSE_IS8_EEEEENS4_IJSI_SJ_SK_SX_SO_SY_EEENS4_IJSM_SN_SO_NSH_IJLi6EEEENSH_IJLi7ELi8EEEENSH_IJLi9EEEEEEENSH_IJLi6ELi7ELi8ELi9EEEElEENS3_INS4_IJSS_SD_SF_SF_S1A_S1B_EEENS4_IJSI_SK_SJ_SX_SO_SY_EEES1H_S1I_lEENS3_INS4_IJSS_SF_SF_NSB_INS4_IJiNS7_IiLi2EEENS7_IiLi64EEEEEELb0EEES1Q_EEENS4_IJSI_SK_SJ_SX_SY_EEENS4_IJSM_SX_SY_NSH_IJLi5ELi6ELi7EEEENSH_IJLi8ELi9ELi10EEEEEEENSH_IJLi5ELi6ELi7ELi8ELi9ELi10EEEElEENS_31BlockToCTileMap_M00_N00_M01_N01ILi128ELi128ES10_Lb0EEELb1ELb0EEEvPKT0_S22_PT1_T2_T3_T4_T5_,@function
_ZN2ck19kernel_gemm_dl_v1r3INS_28GridwiseGemmDl_km_kn_mn_v1r3ILi256EfffLNS_25InMemoryDataOperationEnumE0ENS_16TensorDescriptorINS_5TupleIJNS_5EmbedINS4_IJiiEEENS4_IJNS_17integral_constantIiLi1EEEiEEELb0EEENS_7UnMergeINS4_IJiS8_EEELb0EEENS_11PassThroughIiEEEEENS4_IJNS_8SequenceIJLi0EEEENSH_IJLi2EEEENSH_IJLi1EEEEEEENS4_IJNSH_IJLi1ELi2EEEENSH_IJLi3ELi4EEEENSH_IJLi5EEEEEEENSH_IJLi3ELi5ELi4EEEElEENS3_INS4_IJNS5_IS6_SC_Lb0EEESD_SF_EEENS4_IJSI_SK_SJ_EEESP_SQ_lEENS3_INS4_IJSS_SF_SF_EEESU_NS4_IJSM_NSH_IJLi3EEEENSH_IJLi4EEEEEEESN_lEELi128ELi128ELi16ELi1ELi4ELi4ELi1ENSH_IJLi8ELi2EEEES11_NSH_IJLi2ELi1ELi4ELi1EEEENSH_IJLi8ELi1ELi32ELi1EEEENSH_IJLi0ELi3ELi1ELi2EEEES14_NSH_IJLi1ELi1ELi4ELi1EEEES14_S15_S12_S13_S14_S14_S15_S14_S15_NSH_IJLi0ELi1ELi2ELi3ELi4ELi5EEEELi5ELi4EEEffNS3_INS4_IJSA_SD_SF_SF_NSB_INS4_IJiNS7_IiLi128EEEEEELb0EEENSE_IS8_EEEEENS4_IJSI_SJ_SK_SX_SO_SY_EEENS4_IJSM_SN_SO_NSH_IJLi6EEEENSH_IJLi7ELi8EEEENSH_IJLi9EEEEEEENSH_IJLi6ELi7ELi8ELi9EEEElEENS3_INS4_IJSS_SD_SF_SF_S1A_S1B_EEENS4_IJSI_SK_SJ_SX_SO_SY_EEES1H_S1I_lEENS3_INS4_IJSS_SF_SF_NSB_INS4_IJiNS7_IiLi2EEENS7_IiLi64EEEEEELb0EEES1Q_EEENS4_IJSI_SK_SJ_SX_SY_EEENS4_IJSM_SX_SY_NSH_IJLi5ELi6ELi7EEEENSH_IJLi8ELi9ELi10EEEEEEENSH_IJLi5ELi6ELi7ELi8ELi9ELi10EEEElEENS_31BlockToCTileMap_M00_N00_M01_N01ILi128ELi128ES10_Lb0EEELb1ELb0EEEvPKT0_S22_PT1_T2_T3_T4_T5_: ; @_ZN2ck19kernel_gemm_dl_v1r3INS_28GridwiseGemmDl_km_kn_mn_v1r3ILi256EfffLNS_25InMemoryDataOperationEnumE0ENS_16TensorDescriptorINS_5TupleIJNS_5EmbedINS4_IJiiEEENS4_IJNS_17integral_constantIiLi1EEEiEEELb0EEENS_7UnMergeINS4_IJiS8_EEELb0EEENS_11PassThroughIiEEEEENS4_IJNS_8SequenceIJLi0EEEENSH_IJLi2EEEENSH_IJLi1EEEEEEENS4_IJNSH_IJLi1ELi2EEEENSH_IJLi3ELi4EEEENSH_IJLi5EEEEEEENSH_IJLi3ELi5ELi4EEEElEENS3_INS4_IJNS5_IS6_SC_Lb0EEESD_SF_EEENS4_IJSI_SK_SJ_EEESP_SQ_lEENS3_INS4_IJSS_SF_SF_EEESU_NS4_IJSM_NSH_IJLi3EEEENSH_IJLi4EEEEEEESN_lEELi128ELi128ELi16ELi1ELi4ELi4ELi1ENSH_IJLi8ELi2EEEES11_NSH_IJLi2ELi1ELi4ELi1EEEENSH_IJLi8ELi1ELi32ELi1EEEENSH_IJLi0ELi3ELi1ELi2EEEES14_NSH_IJLi1ELi1ELi4ELi1EEEES14_S15_S12_S13_S14_S14_S15_S14_S15_NSH_IJLi0ELi1ELi2ELi3ELi4ELi5EEEELi5ELi4EEEffNS3_INS4_IJSA_SD_SF_SF_NSB_INS4_IJiNS7_IiLi128EEEEEELb0EEENSE_IS8_EEEEENS4_IJSI_SJ_SK_SX_SO_SY_EEENS4_IJSM_SN_SO_NSH_IJLi6EEEENSH_IJLi7ELi8EEEENSH_IJLi9EEEEEEENSH_IJLi6ELi7ELi8ELi9EEEElEENS3_INS4_IJSS_SD_SF_SF_S1A_S1B_EEENS4_IJSI_SK_SJ_SX_SO_SY_EEES1H_S1I_lEENS3_INS4_IJSS_SF_SF_NSB_INS4_IJiNS7_IiLi2EEENS7_IiLi64EEEEEELb0EEES1Q_EEENS4_IJSI_SK_SJ_SX_SY_EEENS4_IJSM_SX_SY_NSH_IJLi5ELi6ELi7EEEENSH_IJLi8ELi9ELi10EEEEEEENSH_IJLi5ELi6ELi7ELi8ELi9ELi10EEEElEENS_31BlockToCTileMap_M00_N00_M01_N01ILi128ELi128ES10_Lb0EEELb1ELb0EEEvPKT0_S22_PT1_T2_T3_T4_T5_
; %bb.0:
	s_clause 0x3
	s_load_b256 s[16:23], s[0:1], 0x38
	s_load_b256 s[24:31], s[0:1], 0x18
	;; [unrolled: 1-line block ×4, first 2 shown]
	s_mov_b32 s12, s15
	s_clause 0x7
	s_load_b128 s[4:7], s[0:1], 0x0
	s_load_b64 s[14:15], s[0:1], 0x10
	s_load_b256 s[52:59], s[0:1], 0x98
	s_load_b256 s[60:67], s[0:1], 0xb8
	;; [unrolled: 1-line block ×5, first 2 shown]
	s_load_b128 s[8:11], s[0:1], 0x138
	s_mov_b64 s[2:3], src_private_base
	s_movk_i32 s32, 0x140
	s_waitcnt lgkmcnt(0)
	v_dual_mov_b32 v1, s20 :: v_dual_mov_b32 v2, s21
	v_dual_mov_b32 v3, s22 :: v_dual_mov_b32 v4, s23
	;; [unrolled: 1-line block ×16, first 2 shown]
	s_clause 0x7
	scratch_store_b128 off, v[1:4], off offset:48
	scratch_store_b128 off, v[5:8], off offset:32
	;; [unrolled: 1-line block ×3, first 2 shown]
	scratch_store_b128 off, v[13:16], off
	scratch_store_b128 off, v[17:20], off offset:64
	scratch_store_b128 off, v[21:24], off offset:80
	;; [unrolled: 1-line block ×4, first 2 shown]
	v_dual_mov_b32 v1, s64 :: v_dual_mov_b32 v2, s65
	v_dual_mov_b32 v3, s66 :: v_dual_mov_b32 v4, s67
	;; [unrolled: 1-line block ×10, first 2 shown]
	s_clause 0x4
	scratch_store_b128 off, v[1:4], off offset:176
	scratch_store_b128 off, v[5:8], off offset:160
	;; [unrolled: 1-line block ×5, first 2 shown]
	v_dual_mov_b32 v1, s88 :: v_dual_mov_b32 v2, s89
	v_dual_mov_b32 v3, s90 :: v_dual_mov_b32 v4, s91
	;; [unrolled: 1-line block ×12, first 2 shown]
	s_clause 0x5
	scratch_store_b128 off, v[1:4], off offset:272
	scratch_store_b128 off, v[5:8], off offset:256
	;; [unrolled: 1-line block ×6, first 2 shown]
	v_dual_mov_b32 v31, v0 :: v_dual_mov_b32 v0, s4
	v_dual_mov_b32 v1, s5 :: v_dual_mov_b32 v2, s6
	v_dual_mov_b32 v3, s7 :: v_dual_mov_b32 v4, s14
	v_dual_mov_b32 v5, s15 :: v_dual_mov_b32 v6, 0
	v_dual_mov_b32 v7, s3 :: v_dual_mov_b32 v8, 64
	v_dual_mov_b32 v9, s3 :: v_dual_mov_b32 v10, 0x80
	v_dual_mov_b32 v11, s3 :: v_dual_mov_b32 v12, 0xc0
	v_mov_b32_e32 v13, s3
	s_add_u32 s8, s0, 0x148
	s_addc_u32 s9, s1, 0
	s_getpc_b64 s[0:1]
	s_add_u32 s0, s0, _ZN2ck28GridwiseGemmDl_km_kn_mn_v1r3ILi256EfffLNS_25InMemoryDataOperationEnumE0ENS_16TensorDescriptorINS_5TupleIJNS_5EmbedINS3_IJiiEEENS3_IJNS_17integral_constantIiLi1EEEiEEELb0EEENS_7UnMergeINS3_IJiS7_EEELb0EEENS_11PassThroughIiEEEEENS3_IJNS_8SequenceIJLi0EEEENSG_IJLi2EEEENSG_IJLi1EEEEEEENS3_IJNSG_IJLi1ELi2EEEENSG_IJLi3ELi4EEEENSG_IJLi5EEEEEEENSG_IJLi3ELi5ELi4EEEElEENS2_INS3_IJNS4_IS5_SB_Lb0EEESC_SE_EEENS3_IJSH_SJ_SI_EEESO_SP_lEENS2_INS3_IJSR_SE_SE_EEEST_NS3_IJSL_NSG_IJLi3EEEENSG_IJLi4EEEEEEESM_lEELi128ELi128ELi16ELi1ELi4ELi4ELi1ENSG_IJLi8ELi2EEEES10_NSG_IJLi2ELi1ELi4ELi1EEEENSG_IJLi8ELi1ELi32ELi1EEEENSG_IJLi0ELi3ELi1ELi2EEEES13_NSG_IJLi1ELi1ELi4ELi1EEEES13_S14_S11_S12_S13_S13_S14_S13_S14_NSG_IJLi0ELi1ELi2ELi3ELi4ELi5EEEELi5ELi4EE3RunILb1ELb0EEEvPKfS19_PfS1A_RKNS2_INS3_IJS9_SC_SE_SE_NSA_INS3_IJiNS6_IiLi128EEEEEELb0EEENSD_IS7_EEEEENS3_IJSH_SI_SJ_SW_SN_SX_EEENS3_IJSL_SM_SN_NSG_IJLi6EEEENSG_IJLi7ELi8EEEENSG_IJLi9EEEEEEENSG_IJLi6ELi7ELi8ELi9EEEElEERKNS2_INS3_IJSR_SC_SE_SE_S1D_S1E_EEENS3_IJSH_SJ_SI_SW_SN_SX_EEES1K_S1L_lEERKNS2_INS3_IJSR_SE_SE_NSA_INS3_IJiNS6_IiLi2EEENS6_IiLi64EEEEEELb0EEES1X_EEENS3_IJSH_SJ_SI_SW_SX_EEENS3_IJSL_SW_SX_NSG_IJLi5ELi6ELi7EEEENSG_IJLi8ELi9ELi10EEEEEEENSG_IJLi5ELi6ELi7ELi8ELi9ELi10EEEElEERKNS_31BlockToCTileMap_M00_N00_M01_N01ILi128ELi128ESZ_Lb0EEENS6_IbXT_EEENS6_IbXT0_EEE@rel32@lo+4
	s_addc_u32 s1, s1, _ZN2ck28GridwiseGemmDl_km_kn_mn_v1r3ILi256EfffLNS_25InMemoryDataOperationEnumE0ENS_16TensorDescriptorINS_5TupleIJNS_5EmbedINS3_IJiiEEENS3_IJNS_17integral_constantIiLi1EEEiEEELb0EEENS_7UnMergeINS3_IJiS7_EEELb0EEENS_11PassThroughIiEEEEENS3_IJNS_8SequenceIJLi0EEEENSG_IJLi2EEEENSG_IJLi1EEEEEEENS3_IJNSG_IJLi1ELi2EEEENSG_IJLi3ELi4EEEENSG_IJLi5EEEEEEENSG_IJLi3ELi5ELi4EEEElEENS2_INS3_IJNS4_IS5_SB_Lb0EEESC_SE_EEENS3_IJSH_SJ_SI_EEESO_SP_lEENS2_INS3_IJSR_SE_SE_EEEST_NS3_IJSL_NSG_IJLi3EEEENSG_IJLi4EEEEEEESM_lEELi128ELi128ELi16ELi1ELi4ELi4ELi1ENSG_IJLi8ELi2EEEES10_NSG_IJLi2ELi1ELi4ELi1EEEENSG_IJLi8ELi1ELi32ELi1EEEENSG_IJLi0ELi3ELi1ELi2EEEES13_NSG_IJLi1ELi1ELi4ELi1EEEES13_S14_S11_S12_S13_S13_S14_S13_S14_NSG_IJLi0ELi1ELi2ELi3ELi4ELi5EEEELi5ELi4EE3RunILb1ELb0EEEvPKfS19_PfS1A_RKNS2_INS3_IJS9_SC_SE_SE_NSA_INS3_IJiNS6_IiLi128EEEEEELb0EEENSD_IS7_EEEEENS3_IJSH_SI_SJ_SW_SN_SX_EEENS3_IJSL_SM_SN_NSG_IJLi6EEEENSG_IJLi7ELi8EEEENSG_IJLi9EEEEEEENSG_IJLi6ELi7ELi8ELi9EEEElEERKNS2_INS3_IJSR_SC_SE_SE_S1D_S1E_EEENS3_IJSH_SJ_SI_SW_SN_SX_EEES1K_S1L_lEERKNS2_INS3_IJSR_SE_SE_NSA_INS3_IJiNS6_IiLi2EEENS6_IiLi64EEEEEELb0EEES1X_EEENS3_IJSH_SJ_SI_SW_SX_EEENS3_IJSL_SW_SX_NSG_IJLi5ELi6ELi7EEEENSG_IJLi8ELi9ELi10EEEEEEENSG_IJLi5ELi6ELi7ELi8ELi9ELi10EEEElEERKNS_31BlockToCTileMap_M00_N00_M01_N01ILi128ELi128ESZ_Lb0EEENS6_IbXT_EEENS6_IbXT0_EEE@rel32@hi+12
	s_delay_alu instid0(SALU_CYCLE_1)
	s_swappc_b64 s[30:31], s[0:1]
	s_endpgm
	.section	.rodata,"a",@progbits
	.p2align	6, 0x0
	.amdhsa_kernel _ZN2ck19kernel_gemm_dl_v1r3INS_28GridwiseGemmDl_km_kn_mn_v1r3ILi256EfffLNS_25InMemoryDataOperationEnumE0ENS_16TensorDescriptorINS_5TupleIJNS_5EmbedINS4_IJiiEEENS4_IJNS_17integral_constantIiLi1EEEiEEELb0EEENS_7UnMergeINS4_IJiS8_EEELb0EEENS_11PassThroughIiEEEEENS4_IJNS_8SequenceIJLi0EEEENSH_IJLi2EEEENSH_IJLi1EEEEEEENS4_IJNSH_IJLi1ELi2EEEENSH_IJLi3ELi4EEEENSH_IJLi5EEEEEEENSH_IJLi3ELi5ELi4EEEElEENS3_INS4_IJNS5_IS6_SC_Lb0EEESD_SF_EEENS4_IJSI_SK_SJ_EEESP_SQ_lEENS3_INS4_IJSS_SF_SF_EEESU_NS4_IJSM_NSH_IJLi3EEEENSH_IJLi4EEEEEEESN_lEELi128ELi128ELi16ELi1ELi4ELi4ELi1ENSH_IJLi8ELi2EEEES11_NSH_IJLi2ELi1ELi4ELi1EEEENSH_IJLi8ELi1ELi32ELi1EEEENSH_IJLi0ELi3ELi1ELi2EEEES14_NSH_IJLi1ELi1ELi4ELi1EEEES14_S15_S12_S13_S14_S14_S15_S14_S15_NSH_IJLi0ELi1ELi2ELi3ELi4ELi5EEEELi5ELi4EEEffNS3_INS4_IJSA_SD_SF_SF_NSB_INS4_IJiNS7_IiLi128EEEEEELb0EEENSE_IS8_EEEEENS4_IJSI_SJ_SK_SX_SO_SY_EEENS4_IJSM_SN_SO_NSH_IJLi6EEEENSH_IJLi7ELi8EEEENSH_IJLi9EEEEEEENSH_IJLi6ELi7ELi8ELi9EEEElEENS3_INS4_IJSS_SD_SF_SF_S1A_S1B_EEENS4_IJSI_SK_SJ_SX_SO_SY_EEES1H_S1I_lEENS3_INS4_IJSS_SF_SF_NSB_INS4_IJiNS7_IiLi2EEENS7_IiLi64EEEEEELb0EEES1Q_EEENS4_IJSI_SK_SJ_SX_SY_EEENS4_IJSM_SX_SY_NSH_IJLi5ELi6ELi7EEEENSH_IJLi8ELi9ELi10EEEEEEENSH_IJLi5ELi6ELi7ELi8ELi9ELi10EEEElEENS_31BlockToCTileMap_M00_N00_M01_N01ILi128ELi128ES10_Lb0EEELb1ELb0EEEvPKT0_S22_PT1_T2_T3_T4_T5_
		.amdhsa_group_segment_fixed_size 32768
		.amdhsa_private_segment_fixed_size 320
		.amdhsa_kernarg_size 584
		.amdhsa_user_sgpr_count 15
		.amdhsa_user_sgpr_dispatch_ptr 0
		.amdhsa_user_sgpr_queue_ptr 0
		.amdhsa_user_sgpr_kernarg_segment_ptr 1
		.amdhsa_user_sgpr_dispatch_id 0
		.amdhsa_user_sgpr_private_segment_size 0
		.amdhsa_wavefront_size32 1
		.amdhsa_uses_dynamic_stack 0
		.amdhsa_enable_private_segment 1
		.amdhsa_system_sgpr_workgroup_id_x 1
		.amdhsa_system_sgpr_workgroup_id_y 0
		.amdhsa_system_sgpr_workgroup_id_z 0
		.amdhsa_system_sgpr_workgroup_info 0
		.amdhsa_system_vgpr_workitem_id 0
		.amdhsa_next_free_vgpr 212
		.amdhsa_next_free_sgpr 92
		.amdhsa_reserve_vcc 1
		.amdhsa_float_round_mode_32 0
		.amdhsa_float_round_mode_16_64 0
		.amdhsa_float_denorm_mode_32 3
		.amdhsa_float_denorm_mode_16_64 3
		.amdhsa_dx10_clamp 1
		.amdhsa_ieee_mode 1
		.amdhsa_fp16_overflow 0
		.amdhsa_workgroup_processor_mode 1
		.amdhsa_memory_ordered 1
		.amdhsa_forward_progress 0
		.amdhsa_shared_vgpr_count 0
		.amdhsa_exception_fp_ieee_invalid_op 0
		.amdhsa_exception_fp_denorm_src 0
		.amdhsa_exception_fp_ieee_div_zero 0
		.amdhsa_exception_fp_ieee_overflow 0
		.amdhsa_exception_fp_ieee_underflow 0
		.amdhsa_exception_fp_ieee_inexact 0
		.amdhsa_exception_int_div_zero 0
	.end_amdhsa_kernel
	.section	.text._ZN2ck19kernel_gemm_dl_v1r3INS_28GridwiseGemmDl_km_kn_mn_v1r3ILi256EfffLNS_25InMemoryDataOperationEnumE0ENS_16TensorDescriptorINS_5TupleIJNS_5EmbedINS4_IJiiEEENS4_IJNS_17integral_constantIiLi1EEEiEEELb0EEENS_7UnMergeINS4_IJiS8_EEELb0EEENS_11PassThroughIiEEEEENS4_IJNS_8SequenceIJLi0EEEENSH_IJLi2EEEENSH_IJLi1EEEEEEENS4_IJNSH_IJLi1ELi2EEEENSH_IJLi3ELi4EEEENSH_IJLi5EEEEEEENSH_IJLi3ELi5ELi4EEEElEENS3_INS4_IJNS5_IS6_SC_Lb0EEESD_SF_EEENS4_IJSI_SK_SJ_EEESP_SQ_lEENS3_INS4_IJSS_SF_SF_EEESU_NS4_IJSM_NSH_IJLi3EEEENSH_IJLi4EEEEEEESN_lEELi128ELi128ELi16ELi1ELi4ELi4ELi1ENSH_IJLi8ELi2EEEES11_NSH_IJLi2ELi1ELi4ELi1EEEENSH_IJLi8ELi1ELi32ELi1EEEENSH_IJLi0ELi3ELi1ELi2EEEES14_NSH_IJLi1ELi1ELi4ELi1EEEES14_S15_S12_S13_S14_S14_S15_S14_S15_NSH_IJLi0ELi1ELi2ELi3ELi4ELi5EEEELi5ELi4EEEffNS3_INS4_IJSA_SD_SF_SF_NSB_INS4_IJiNS7_IiLi128EEEEEELb0EEENSE_IS8_EEEEENS4_IJSI_SJ_SK_SX_SO_SY_EEENS4_IJSM_SN_SO_NSH_IJLi6EEEENSH_IJLi7ELi8EEEENSH_IJLi9EEEEEEENSH_IJLi6ELi7ELi8ELi9EEEElEENS3_INS4_IJSS_SD_SF_SF_S1A_S1B_EEENS4_IJSI_SK_SJ_SX_SO_SY_EEES1H_S1I_lEENS3_INS4_IJSS_SF_SF_NSB_INS4_IJiNS7_IiLi2EEENS7_IiLi64EEEEEELb0EEES1Q_EEENS4_IJSI_SK_SJ_SX_SY_EEENS4_IJSM_SX_SY_NSH_IJLi5ELi6ELi7EEEENSH_IJLi8ELi9ELi10EEEEEEENSH_IJLi5ELi6ELi7ELi8ELi9ELi10EEEElEENS_31BlockToCTileMap_M00_N00_M01_N01ILi128ELi128ES10_Lb0EEELb1ELb0EEEvPKT0_S22_PT1_T2_T3_T4_T5_,"axG",@progbits,_ZN2ck19kernel_gemm_dl_v1r3INS_28GridwiseGemmDl_km_kn_mn_v1r3ILi256EfffLNS_25InMemoryDataOperationEnumE0ENS_16TensorDescriptorINS_5TupleIJNS_5EmbedINS4_IJiiEEENS4_IJNS_17integral_constantIiLi1EEEiEEELb0EEENS_7UnMergeINS4_IJiS8_EEELb0EEENS_11PassThroughIiEEEEENS4_IJNS_8SequenceIJLi0EEEENSH_IJLi2EEEENSH_IJLi1EEEEEEENS4_IJNSH_IJLi1ELi2EEEENSH_IJLi3ELi4EEEENSH_IJLi5EEEEEEENSH_IJLi3ELi5ELi4EEEElEENS3_INS4_IJNS5_IS6_SC_Lb0EEESD_SF_EEENS4_IJSI_SK_SJ_EEESP_SQ_lEENS3_INS4_IJSS_SF_SF_EEESU_NS4_IJSM_NSH_IJLi3EEEENSH_IJLi4EEEEEEESN_lEELi128ELi128ELi16ELi1ELi4ELi4ELi1ENSH_IJLi8ELi2EEEES11_NSH_IJLi2ELi1ELi4ELi1EEEENSH_IJLi8ELi1ELi32ELi1EEEENSH_IJLi0ELi3ELi1ELi2EEEES14_NSH_IJLi1ELi1ELi4ELi1EEEES14_S15_S12_S13_S14_S14_S15_S14_S15_NSH_IJLi0ELi1ELi2ELi3ELi4ELi5EEEELi5ELi4EEEffNS3_INS4_IJSA_SD_SF_SF_NSB_INS4_IJiNS7_IiLi128EEEEEELb0EEENSE_IS8_EEEEENS4_IJSI_SJ_SK_SX_SO_SY_EEENS4_IJSM_SN_SO_NSH_IJLi6EEEENSH_IJLi7ELi8EEEENSH_IJLi9EEEEEEENSH_IJLi6ELi7ELi8ELi9EEEElEENS3_INS4_IJSS_SD_SF_SF_S1A_S1B_EEENS4_IJSI_SK_SJ_SX_SO_SY_EEES1H_S1I_lEENS3_INS4_IJSS_SF_SF_NSB_INS4_IJiNS7_IiLi2EEENS7_IiLi64EEEEEELb0EEES1Q_EEENS4_IJSI_SK_SJ_SX_SY_EEENS4_IJSM_SX_SY_NSH_IJLi5ELi6ELi7EEEENSH_IJLi8ELi9ELi10EEEEEEENSH_IJLi5ELi6ELi7ELi8ELi9ELi10EEEElEENS_31BlockToCTileMap_M00_N00_M01_N01ILi128ELi128ES10_Lb0EEELb1ELb0EEEvPKT0_S22_PT1_T2_T3_T4_T5_,comdat
.Lfunc_end4:
	.size	_ZN2ck19kernel_gemm_dl_v1r3INS_28GridwiseGemmDl_km_kn_mn_v1r3ILi256EfffLNS_25InMemoryDataOperationEnumE0ENS_16TensorDescriptorINS_5TupleIJNS_5EmbedINS4_IJiiEEENS4_IJNS_17integral_constantIiLi1EEEiEEELb0EEENS_7UnMergeINS4_IJiS8_EEELb0EEENS_11PassThroughIiEEEEENS4_IJNS_8SequenceIJLi0EEEENSH_IJLi2EEEENSH_IJLi1EEEEEEENS4_IJNSH_IJLi1ELi2EEEENSH_IJLi3ELi4EEEENSH_IJLi5EEEEEEENSH_IJLi3ELi5ELi4EEEElEENS3_INS4_IJNS5_IS6_SC_Lb0EEESD_SF_EEENS4_IJSI_SK_SJ_EEESP_SQ_lEENS3_INS4_IJSS_SF_SF_EEESU_NS4_IJSM_NSH_IJLi3EEEENSH_IJLi4EEEEEEESN_lEELi128ELi128ELi16ELi1ELi4ELi4ELi1ENSH_IJLi8ELi2EEEES11_NSH_IJLi2ELi1ELi4ELi1EEEENSH_IJLi8ELi1ELi32ELi1EEEENSH_IJLi0ELi3ELi1ELi2EEEES14_NSH_IJLi1ELi1ELi4ELi1EEEES14_S15_S12_S13_S14_S14_S15_S14_S15_NSH_IJLi0ELi1ELi2ELi3ELi4ELi5EEEELi5ELi4EEEffNS3_INS4_IJSA_SD_SF_SF_NSB_INS4_IJiNS7_IiLi128EEEEEELb0EEENSE_IS8_EEEEENS4_IJSI_SJ_SK_SX_SO_SY_EEENS4_IJSM_SN_SO_NSH_IJLi6EEEENSH_IJLi7ELi8EEEENSH_IJLi9EEEEEEENSH_IJLi6ELi7ELi8ELi9EEEElEENS3_INS4_IJSS_SD_SF_SF_S1A_S1B_EEENS4_IJSI_SK_SJ_SX_SO_SY_EEES1H_S1I_lEENS3_INS4_IJSS_SF_SF_NSB_INS4_IJiNS7_IiLi2EEENS7_IiLi64EEEEEELb0EEES1Q_EEENS4_IJSI_SK_SJ_SX_SY_EEENS4_IJSM_SX_SY_NSH_IJLi5ELi6ELi7EEEENSH_IJLi8ELi9ELi10EEEEEEENSH_IJLi5ELi6ELi7ELi8ELi9ELi10EEEElEENS_31BlockToCTileMap_M00_N00_M01_N01ILi128ELi128ES10_Lb0EEELb1ELb0EEEvPKT0_S22_PT1_T2_T3_T4_T5_, .Lfunc_end4-_ZN2ck19kernel_gemm_dl_v1r3INS_28GridwiseGemmDl_km_kn_mn_v1r3ILi256EfffLNS_25InMemoryDataOperationEnumE0ENS_16TensorDescriptorINS_5TupleIJNS_5EmbedINS4_IJiiEEENS4_IJNS_17integral_constantIiLi1EEEiEEELb0EEENS_7UnMergeINS4_IJiS8_EEELb0EEENS_11PassThroughIiEEEEENS4_IJNS_8SequenceIJLi0EEEENSH_IJLi2EEEENSH_IJLi1EEEEEEENS4_IJNSH_IJLi1ELi2EEEENSH_IJLi3ELi4EEEENSH_IJLi5EEEEEEENSH_IJLi3ELi5ELi4EEEElEENS3_INS4_IJNS5_IS6_SC_Lb0EEESD_SF_EEENS4_IJSI_SK_SJ_EEESP_SQ_lEENS3_INS4_IJSS_SF_SF_EEESU_NS4_IJSM_NSH_IJLi3EEEENSH_IJLi4EEEEEEESN_lEELi128ELi128ELi16ELi1ELi4ELi4ELi1ENSH_IJLi8ELi2EEEES11_NSH_IJLi2ELi1ELi4ELi1EEEENSH_IJLi8ELi1ELi32ELi1EEEENSH_IJLi0ELi3ELi1ELi2EEEES14_NSH_IJLi1ELi1ELi4ELi1EEEES14_S15_S12_S13_S14_S14_S15_S14_S15_NSH_IJLi0ELi1ELi2ELi3ELi4ELi5EEEELi5ELi4EEEffNS3_INS4_IJSA_SD_SF_SF_NSB_INS4_IJiNS7_IiLi128EEEEEELb0EEENSE_IS8_EEEEENS4_IJSI_SJ_SK_SX_SO_SY_EEENS4_IJSM_SN_SO_NSH_IJLi6EEEENSH_IJLi7ELi8EEEENSH_IJLi9EEEEEEENSH_IJLi6ELi7ELi8ELi9EEEElEENS3_INS4_IJSS_SD_SF_SF_S1A_S1B_EEENS4_IJSI_SK_SJ_SX_SO_SY_EEES1H_S1I_lEENS3_INS4_IJSS_SF_SF_NSB_INS4_IJiNS7_IiLi2EEENS7_IiLi64EEEEEELb0EEES1Q_EEENS4_IJSI_SK_SJ_SX_SY_EEENS4_IJSM_SX_SY_NSH_IJLi5ELi6ELi7EEEENSH_IJLi8ELi9ELi10EEEEEEENSH_IJLi5ELi6ELi7ELi8ELi9ELi10EEEElEENS_31BlockToCTileMap_M00_N00_M01_N01ILi128ELi128ES10_Lb0EEELb1ELb0EEEvPKT0_S22_PT1_T2_T3_T4_T5_
                                        ; -- End function
	.section	.AMDGPU.csdata,"",@progbits
; Kernel info:
; codeLenInByte = 700
; NumSgprs: 94
; NumVgprs: 212
; ScratchSize: 320
; MemoryBound: 0
; FloatMode: 240
; IeeeMode: 1
; LDSByteSize: 32768 bytes/workgroup (compile time only)
; SGPRBlocks: 11
; VGPRBlocks: 26
; NumSGPRsForWavesPerEU: 94
; NumVGPRsForWavesPerEU: 212
; Occupancy: 7
; WaveLimiterHint : 0
; COMPUTE_PGM_RSRC2:SCRATCH_EN: 1
; COMPUTE_PGM_RSRC2:USER_SGPR: 15
; COMPUTE_PGM_RSRC2:TRAP_HANDLER: 0
; COMPUTE_PGM_RSRC2:TGID_X_EN: 1
; COMPUTE_PGM_RSRC2:TGID_Y_EN: 0
; COMPUTE_PGM_RSRC2:TGID_Z_EN: 0
; COMPUTE_PGM_RSRC2:TIDIG_COMP_CNT: 0
	.section	.text._ZN2ck19kernel_gemm_dl_v1r3INS_28GridwiseGemmDl_km_kn_mn_v1r3ILi256EfffLNS_25InMemoryDataOperationEnumE0ENS_16TensorDescriptorINS_5TupleIJNS_5EmbedINS4_IJiiEEENS4_IJNS_17integral_constantIiLi1EEEiEEELb0EEENS_7UnMergeINS4_IJiS8_EEELb0EEENS_11PassThroughIiEEEEENS4_IJNS_8SequenceIJLi0EEEENSH_IJLi2EEEENSH_IJLi1EEEEEEENS4_IJNSH_IJLi1ELi2EEEENSH_IJLi3ELi4EEEENSH_IJLi5EEEEEEENSH_IJLi3ELi5ELi4EEEElEENS3_INS4_IJNS5_IS6_SC_Lb0EEESD_SF_EEENS4_IJSI_SK_SJ_EEESP_SQ_lEENS3_INS4_IJSS_SF_SF_EEESU_NS4_IJSM_NSH_IJLi3EEEENSH_IJLi4EEEEEEESN_lEELi128ELi128ELi16ELi1ELi4ELi4ELi1ENSH_IJLi8ELi2EEEES11_NSH_IJLi2ELi1ELi4ELi1EEEENSH_IJLi8ELi1ELi32ELi1EEEENSH_IJLi0ELi3ELi1ELi2EEEES14_NSH_IJLi1ELi1ELi4ELi1EEEES14_S15_S12_S13_S14_S14_S15_S14_S15_NSH_IJLi0ELi1ELi2ELi3ELi4ELi5EEEELi5ELi4EEEffNS3_INS4_IJSA_SD_SF_SF_NSB_INS4_IJiNS7_IiLi128EEEEEELb0EEENSE_IS8_EEEEENS4_IJSI_SJ_SK_SX_SO_SY_EEENS4_IJSM_SN_SO_NSH_IJLi6EEEENSH_IJLi7ELi8EEEENSH_IJLi9EEEEEEENSH_IJLi6ELi7ELi8ELi9EEEElEENS3_INS4_IJSS_SD_SF_SF_S1A_S1B_EEENS4_IJSI_SK_SJ_SX_SO_SY_EEES1H_S1I_lEENS3_INS4_IJSS_SF_SF_NSB_INS4_IJiNS7_IiLi2EEENS7_IiLi64EEEEEELb0EEES1Q_EEENS4_IJSI_SK_SJ_SX_SY_EEENS4_IJSM_SX_SY_NSH_IJLi5ELi6ELi7EEEENSH_IJLi8ELi9ELi10EEEEEEENSH_IJLi5ELi6ELi7ELi8ELi9ELi10EEEElEENS_31BlockToCTileMap_M00_N00_M01_N01ILi128ELi128ES10_Lb0EEELb0ELb1EEEvPKT0_S22_PT1_T2_T3_T4_T5_,"axG",@progbits,_ZN2ck19kernel_gemm_dl_v1r3INS_28GridwiseGemmDl_km_kn_mn_v1r3ILi256EfffLNS_25InMemoryDataOperationEnumE0ENS_16TensorDescriptorINS_5TupleIJNS_5EmbedINS4_IJiiEEENS4_IJNS_17integral_constantIiLi1EEEiEEELb0EEENS_7UnMergeINS4_IJiS8_EEELb0EEENS_11PassThroughIiEEEEENS4_IJNS_8SequenceIJLi0EEEENSH_IJLi2EEEENSH_IJLi1EEEEEEENS4_IJNSH_IJLi1ELi2EEEENSH_IJLi3ELi4EEEENSH_IJLi5EEEEEEENSH_IJLi3ELi5ELi4EEEElEENS3_INS4_IJNS5_IS6_SC_Lb0EEESD_SF_EEENS4_IJSI_SK_SJ_EEESP_SQ_lEENS3_INS4_IJSS_SF_SF_EEESU_NS4_IJSM_NSH_IJLi3EEEENSH_IJLi4EEEEEEESN_lEELi128ELi128ELi16ELi1ELi4ELi4ELi1ENSH_IJLi8ELi2EEEES11_NSH_IJLi2ELi1ELi4ELi1EEEENSH_IJLi8ELi1ELi32ELi1EEEENSH_IJLi0ELi3ELi1ELi2EEEES14_NSH_IJLi1ELi1ELi4ELi1EEEES14_S15_S12_S13_S14_S14_S15_S14_S15_NSH_IJLi0ELi1ELi2ELi3ELi4ELi5EEEELi5ELi4EEEffNS3_INS4_IJSA_SD_SF_SF_NSB_INS4_IJiNS7_IiLi128EEEEEELb0EEENSE_IS8_EEEEENS4_IJSI_SJ_SK_SX_SO_SY_EEENS4_IJSM_SN_SO_NSH_IJLi6EEEENSH_IJLi7ELi8EEEENSH_IJLi9EEEEEEENSH_IJLi6ELi7ELi8ELi9EEEElEENS3_INS4_IJSS_SD_SF_SF_S1A_S1B_EEENS4_IJSI_SK_SJ_SX_SO_SY_EEES1H_S1I_lEENS3_INS4_IJSS_SF_SF_NSB_INS4_IJiNS7_IiLi2EEENS7_IiLi64EEEEEELb0EEES1Q_EEENS4_IJSI_SK_SJ_SX_SY_EEENS4_IJSM_SX_SY_NSH_IJLi5ELi6ELi7EEEENSH_IJLi8ELi9ELi10EEEEEEENSH_IJLi5ELi6ELi7ELi8ELi9ELi10EEEElEENS_31BlockToCTileMap_M00_N00_M01_N01ILi128ELi128ES10_Lb0EEELb0ELb1EEEvPKT0_S22_PT1_T2_T3_T4_T5_,comdat
	.protected	_ZN2ck19kernel_gemm_dl_v1r3INS_28GridwiseGemmDl_km_kn_mn_v1r3ILi256EfffLNS_25InMemoryDataOperationEnumE0ENS_16TensorDescriptorINS_5TupleIJNS_5EmbedINS4_IJiiEEENS4_IJNS_17integral_constantIiLi1EEEiEEELb0EEENS_7UnMergeINS4_IJiS8_EEELb0EEENS_11PassThroughIiEEEEENS4_IJNS_8SequenceIJLi0EEEENSH_IJLi2EEEENSH_IJLi1EEEEEEENS4_IJNSH_IJLi1ELi2EEEENSH_IJLi3ELi4EEEENSH_IJLi5EEEEEEENSH_IJLi3ELi5ELi4EEEElEENS3_INS4_IJNS5_IS6_SC_Lb0EEESD_SF_EEENS4_IJSI_SK_SJ_EEESP_SQ_lEENS3_INS4_IJSS_SF_SF_EEESU_NS4_IJSM_NSH_IJLi3EEEENSH_IJLi4EEEEEEESN_lEELi128ELi128ELi16ELi1ELi4ELi4ELi1ENSH_IJLi8ELi2EEEES11_NSH_IJLi2ELi1ELi4ELi1EEEENSH_IJLi8ELi1ELi32ELi1EEEENSH_IJLi0ELi3ELi1ELi2EEEES14_NSH_IJLi1ELi1ELi4ELi1EEEES14_S15_S12_S13_S14_S14_S15_S14_S15_NSH_IJLi0ELi1ELi2ELi3ELi4ELi5EEEELi5ELi4EEEffNS3_INS4_IJSA_SD_SF_SF_NSB_INS4_IJiNS7_IiLi128EEEEEELb0EEENSE_IS8_EEEEENS4_IJSI_SJ_SK_SX_SO_SY_EEENS4_IJSM_SN_SO_NSH_IJLi6EEEENSH_IJLi7ELi8EEEENSH_IJLi9EEEEEEENSH_IJLi6ELi7ELi8ELi9EEEElEENS3_INS4_IJSS_SD_SF_SF_S1A_S1B_EEENS4_IJSI_SK_SJ_SX_SO_SY_EEES1H_S1I_lEENS3_INS4_IJSS_SF_SF_NSB_INS4_IJiNS7_IiLi2EEENS7_IiLi64EEEEEELb0EEES1Q_EEENS4_IJSI_SK_SJ_SX_SY_EEENS4_IJSM_SX_SY_NSH_IJLi5ELi6ELi7EEEENSH_IJLi8ELi9ELi10EEEEEEENSH_IJLi5ELi6ELi7ELi8ELi9ELi10EEEElEENS_31BlockToCTileMap_M00_N00_M01_N01ILi128ELi128ES10_Lb0EEELb0ELb1EEEvPKT0_S22_PT1_T2_T3_T4_T5_ ; -- Begin function _ZN2ck19kernel_gemm_dl_v1r3INS_28GridwiseGemmDl_km_kn_mn_v1r3ILi256EfffLNS_25InMemoryDataOperationEnumE0ENS_16TensorDescriptorINS_5TupleIJNS_5EmbedINS4_IJiiEEENS4_IJNS_17integral_constantIiLi1EEEiEEELb0EEENS_7UnMergeINS4_IJiS8_EEELb0EEENS_11PassThroughIiEEEEENS4_IJNS_8SequenceIJLi0EEEENSH_IJLi2EEEENSH_IJLi1EEEEEEENS4_IJNSH_IJLi1ELi2EEEENSH_IJLi3ELi4EEEENSH_IJLi5EEEEEEENSH_IJLi3ELi5ELi4EEEElEENS3_INS4_IJNS5_IS6_SC_Lb0EEESD_SF_EEENS4_IJSI_SK_SJ_EEESP_SQ_lEENS3_INS4_IJSS_SF_SF_EEESU_NS4_IJSM_NSH_IJLi3EEEENSH_IJLi4EEEEEEESN_lEELi128ELi128ELi16ELi1ELi4ELi4ELi1ENSH_IJLi8ELi2EEEES11_NSH_IJLi2ELi1ELi4ELi1EEEENSH_IJLi8ELi1ELi32ELi1EEEENSH_IJLi0ELi3ELi1ELi2EEEES14_NSH_IJLi1ELi1ELi4ELi1EEEES14_S15_S12_S13_S14_S14_S15_S14_S15_NSH_IJLi0ELi1ELi2ELi3ELi4ELi5EEEELi5ELi4EEEffNS3_INS4_IJSA_SD_SF_SF_NSB_INS4_IJiNS7_IiLi128EEEEEELb0EEENSE_IS8_EEEEENS4_IJSI_SJ_SK_SX_SO_SY_EEENS4_IJSM_SN_SO_NSH_IJLi6EEEENSH_IJLi7ELi8EEEENSH_IJLi9EEEEEEENSH_IJLi6ELi7ELi8ELi9EEEElEENS3_INS4_IJSS_SD_SF_SF_S1A_S1B_EEENS4_IJSI_SK_SJ_SX_SO_SY_EEES1H_S1I_lEENS3_INS4_IJSS_SF_SF_NSB_INS4_IJiNS7_IiLi2EEENS7_IiLi64EEEEEELb0EEES1Q_EEENS4_IJSI_SK_SJ_SX_SY_EEENS4_IJSM_SX_SY_NSH_IJLi5ELi6ELi7EEEENSH_IJLi8ELi9ELi10EEEEEEENSH_IJLi5ELi6ELi7ELi8ELi9ELi10EEEElEENS_31BlockToCTileMap_M00_N00_M01_N01ILi128ELi128ES10_Lb0EEELb0ELb1EEEvPKT0_S22_PT1_T2_T3_T4_T5_
	.globl	_ZN2ck19kernel_gemm_dl_v1r3INS_28GridwiseGemmDl_km_kn_mn_v1r3ILi256EfffLNS_25InMemoryDataOperationEnumE0ENS_16TensorDescriptorINS_5TupleIJNS_5EmbedINS4_IJiiEEENS4_IJNS_17integral_constantIiLi1EEEiEEELb0EEENS_7UnMergeINS4_IJiS8_EEELb0EEENS_11PassThroughIiEEEEENS4_IJNS_8SequenceIJLi0EEEENSH_IJLi2EEEENSH_IJLi1EEEEEEENS4_IJNSH_IJLi1ELi2EEEENSH_IJLi3ELi4EEEENSH_IJLi5EEEEEEENSH_IJLi3ELi5ELi4EEEElEENS3_INS4_IJNS5_IS6_SC_Lb0EEESD_SF_EEENS4_IJSI_SK_SJ_EEESP_SQ_lEENS3_INS4_IJSS_SF_SF_EEESU_NS4_IJSM_NSH_IJLi3EEEENSH_IJLi4EEEEEEESN_lEELi128ELi128ELi16ELi1ELi4ELi4ELi1ENSH_IJLi8ELi2EEEES11_NSH_IJLi2ELi1ELi4ELi1EEEENSH_IJLi8ELi1ELi32ELi1EEEENSH_IJLi0ELi3ELi1ELi2EEEES14_NSH_IJLi1ELi1ELi4ELi1EEEES14_S15_S12_S13_S14_S14_S15_S14_S15_NSH_IJLi0ELi1ELi2ELi3ELi4ELi5EEEELi5ELi4EEEffNS3_INS4_IJSA_SD_SF_SF_NSB_INS4_IJiNS7_IiLi128EEEEEELb0EEENSE_IS8_EEEEENS4_IJSI_SJ_SK_SX_SO_SY_EEENS4_IJSM_SN_SO_NSH_IJLi6EEEENSH_IJLi7ELi8EEEENSH_IJLi9EEEEEEENSH_IJLi6ELi7ELi8ELi9EEEElEENS3_INS4_IJSS_SD_SF_SF_S1A_S1B_EEENS4_IJSI_SK_SJ_SX_SO_SY_EEES1H_S1I_lEENS3_INS4_IJSS_SF_SF_NSB_INS4_IJiNS7_IiLi2EEENS7_IiLi64EEEEEELb0EEES1Q_EEENS4_IJSI_SK_SJ_SX_SY_EEENS4_IJSM_SX_SY_NSH_IJLi5ELi6ELi7EEEENSH_IJLi8ELi9ELi10EEEEEEENSH_IJLi5ELi6ELi7ELi8ELi9ELi10EEEElEENS_31BlockToCTileMap_M00_N00_M01_N01ILi128ELi128ES10_Lb0EEELb0ELb1EEEvPKT0_S22_PT1_T2_T3_T4_T5_
	.p2align	8
	.type	_ZN2ck19kernel_gemm_dl_v1r3INS_28GridwiseGemmDl_km_kn_mn_v1r3ILi256EfffLNS_25InMemoryDataOperationEnumE0ENS_16TensorDescriptorINS_5TupleIJNS_5EmbedINS4_IJiiEEENS4_IJNS_17integral_constantIiLi1EEEiEEELb0EEENS_7UnMergeINS4_IJiS8_EEELb0EEENS_11PassThroughIiEEEEENS4_IJNS_8SequenceIJLi0EEEENSH_IJLi2EEEENSH_IJLi1EEEEEEENS4_IJNSH_IJLi1ELi2EEEENSH_IJLi3ELi4EEEENSH_IJLi5EEEEEEENSH_IJLi3ELi5ELi4EEEElEENS3_INS4_IJNS5_IS6_SC_Lb0EEESD_SF_EEENS4_IJSI_SK_SJ_EEESP_SQ_lEENS3_INS4_IJSS_SF_SF_EEESU_NS4_IJSM_NSH_IJLi3EEEENSH_IJLi4EEEEEEESN_lEELi128ELi128ELi16ELi1ELi4ELi4ELi1ENSH_IJLi8ELi2EEEES11_NSH_IJLi2ELi1ELi4ELi1EEEENSH_IJLi8ELi1ELi32ELi1EEEENSH_IJLi0ELi3ELi1ELi2EEEES14_NSH_IJLi1ELi1ELi4ELi1EEEES14_S15_S12_S13_S14_S14_S15_S14_S15_NSH_IJLi0ELi1ELi2ELi3ELi4ELi5EEEELi5ELi4EEEffNS3_INS4_IJSA_SD_SF_SF_NSB_INS4_IJiNS7_IiLi128EEEEEELb0EEENSE_IS8_EEEEENS4_IJSI_SJ_SK_SX_SO_SY_EEENS4_IJSM_SN_SO_NSH_IJLi6EEEENSH_IJLi7ELi8EEEENSH_IJLi9EEEEEEENSH_IJLi6ELi7ELi8ELi9EEEElEENS3_INS4_IJSS_SD_SF_SF_S1A_S1B_EEENS4_IJSI_SK_SJ_SX_SO_SY_EEES1H_S1I_lEENS3_INS4_IJSS_SF_SF_NSB_INS4_IJiNS7_IiLi2EEENS7_IiLi64EEEEEELb0EEES1Q_EEENS4_IJSI_SK_SJ_SX_SY_EEENS4_IJSM_SX_SY_NSH_IJLi5ELi6ELi7EEEENSH_IJLi8ELi9ELi10EEEEEEENSH_IJLi5ELi6ELi7ELi8ELi9ELi10EEEElEENS_31BlockToCTileMap_M00_N00_M01_N01ILi128ELi128ES10_Lb0EEELb0ELb1EEEvPKT0_S22_PT1_T2_T3_T4_T5_,@function
_ZN2ck19kernel_gemm_dl_v1r3INS_28GridwiseGemmDl_km_kn_mn_v1r3ILi256EfffLNS_25InMemoryDataOperationEnumE0ENS_16TensorDescriptorINS_5TupleIJNS_5EmbedINS4_IJiiEEENS4_IJNS_17integral_constantIiLi1EEEiEEELb0EEENS_7UnMergeINS4_IJiS8_EEELb0EEENS_11PassThroughIiEEEEENS4_IJNS_8SequenceIJLi0EEEENSH_IJLi2EEEENSH_IJLi1EEEEEEENS4_IJNSH_IJLi1ELi2EEEENSH_IJLi3ELi4EEEENSH_IJLi5EEEEEEENSH_IJLi3ELi5ELi4EEEElEENS3_INS4_IJNS5_IS6_SC_Lb0EEESD_SF_EEENS4_IJSI_SK_SJ_EEESP_SQ_lEENS3_INS4_IJSS_SF_SF_EEESU_NS4_IJSM_NSH_IJLi3EEEENSH_IJLi4EEEEEEESN_lEELi128ELi128ELi16ELi1ELi4ELi4ELi1ENSH_IJLi8ELi2EEEES11_NSH_IJLi2ELi1ELi4ELi1EEEENSH_IJLi8ELi1ELi32ELi1EEEENSH_IJLi0ELi3ELi1ELi2EEEES14_NSH_IJLi1ELi1ELi4ELi1EEEES14_S15_S12_S13_S14_S14_S15_S14_S15_NSH_IJLi0ELi1ELi2ELi3ELi4ELi5EEEELi5ELi4EEEffNS3_INS4_IJSA_SD_SF_SF_NSB_INS4_IJiNS7_IiLi128EEEEEELb0EEENSE_IS8_EEEEENS4_IJSI_SJ_SK_SX_SO_SY_EEENS4_IJSM_SN_SO_NSH_IJLi6EEEENSH_IJLi7ELi8EEEENSH_IJLi9EEEEEEENSH_IJLi6ELi7ELi8ELi9EEEElEENS3_INS4_IJSS_SD_SF_SF_S1A_S1B_EEENS4_IJSI_SK_SJ_SX_SO_SY_EEES1H_S1I_lEENS3_INS4_IJSS_SF_SF_NSB_INS4_IJiNS7_IiLi2EEENS7_IiLi64EEEEEELb0EEES1Q_EEENS4_IJSI_SK_SJ_SX_SY_EEENS4_IJSM_SX_SY_NSH_IJLi5ELi6ELi7EEEENSH_IJLi8ELi9ELi10EEEEEEENSH_IJLi5ELi6ELi7ELi8ELi9ELi10EEEElEENS_31BlockToCTileMap_M00_N00_M01_N01ILi128ELi128ES10_Lb0EEELb0ELb1EEEvPKT0_S22_PT1_T2_T3_T4_T5_: ; @_ZN2ck19kernel_gemm_dl_v1r3INS_28GridwiseGemmDl_km_kn_mn_v1r3ILi256EfffLNS_25InMemoryDataOperationEnumE0ENS_16TensorDescriptorINS_5TupleIJNS_5EmbedINS4_IJiiEEENS4_IJNS_17integral_constantIiLi1EEEiEEELb0EEENS_7UnMergeINS4_IJiS8_EEELb0EEENS_11PassThroughIiEEEEENS4_IJNS_8SequenceIJLi0EEEENSH_IJLi2EEEENSH_IJLi1EEEEEEENS4_IJNSH_IJLi1ELi2EEEENSH_IJLi3ELi4EEEENSH_IJLi5EEEEEEENSH_IJLi3ELi5ELi4EEEElEENS3_INS4_IJNS5_IS6_SC_Lb0EEESD_SF_EEENS4_IJSI_SK_SJ_EEESP_SQ_lEENS3_INS4_IJSS_SF_SF_EEESU_NS4_IJSM_NSH_IJLi3EEEENSH_IJLi4EEEEEEESN_lEELi128ELi128ELi16ELi1ELi4ELi4ELi1ENSH_IJLi8ELi2EEEES11_NSH_IJLi2ELi1ELi4ELi1EEEENSH_IJLi8ELi1ELi32ELi1EEEENSH_IJLi0ELi3ELi1ELi2EEEES14_NSH_IJLi1ELi1ELi4ELi1EEEES14_S15_S12_S13_S14_S14_S15_S14_S15_NSH_IJLi0ELi1ELi2ELi3ELi4ELi5EEEELi5ELi4EEEffNS3_INS4_IJSA_SD_SF_SF_NSB_INS4_IJiNS7_IiLi128EEEEEELb0EEENSE_IS8_EEEEENS4_IJSI_SJ_SK_SX_SO_SY_EEENS4_IJSM_SN_SO_NSH_IJLi6EEEENSH_IJLi7ELi8EEEENSH_IJLi9EEEEEEENSH_IJLi6ELi7ELi8ELi9EEEElEENS3_INS4_IJSS_SD_SF_SF_S1A_S1B_EEENS4_IJSI_SK_SJ_SX_SO_SY_EEES1H_S1I_lEENS3_INS4_IJSS_SF_SF_NSB_INS4_IJiNS7_IiLi2EEENS7_IiLi64EEEEEELb0EEES1Q_EEENS4_IJSI_SK_SJ_SX_SY_EEENS4_IJSM_SX_SY_NSH_IJLi5ELi6ELi7EEEENSH_IJLi8ELi9ELi10EEEEEEENSH_IJLi5ELi6ELi7ELi8ELi9ELi10EEEElEENS_31BlockToCTileMap_M00_N00_M01_N01ILi128ELi128ES10_Lb0EEELb0ELb1EEEvPKT0_S22_PT1_T2_T3_T4_T5_
; %bb.0:
	s_clause 0x3
	s_load_b128 s[20:23], s[0:1], 0x11c
	s_load_b128 s[8:11], s[0:1], 0x130
	;; [unrolled: 1-line block ×4, first 2 shown]
	v_dual_mov_b32 v8, 0 :: v_dual_lshlrev_b32 v59, 2, v0
	v_lshrrev_b32_e32 v1, 4, v0
	v_dual_mov_b32 v49, 0 :: v_dual_lshlrev_b32 v54, 1, v0
	s_delay_alu instid0(VALU_DEP_3) | instskip(NEXT) | instid1(VALU_DEP_3)
	v_dual_mov_b32 v10, 0 :: v_dual_and_b32 v57, 0x7c, v59
	v_and_b32_e32 v60, 14, v1
	v_lshrrev_b32_e32 v0, 5, v0
	s_delay_alu instid0(VALU_DEP_3) | instskip(SKIP_2) | instid1(VALU_DEP_4)
	v_dual_mov_b32 v56, 0 :: v_dual_lshlrev_b32 v79, 2, v57
	v_dual_mov_b32 v53, 0 :: v_dual_and_b32 v58, 0x1f8, v54
	v_dual_mov_b32 v54, 0 :: v_dual_and_b32 v77, 0x1fc, v54
	v_dual_mov_b32 v55, 0 :: v_dual_lshlrev_b32 v78, 6, v0
	s_waitcnt lgkmcnt(0)
	s_mul_hi_u32 s2, s23, s15
	s_delay_alu instid0(VALU_DEP_2)
	v_sub_nc_u32_e32 v77, v77, v58
	s_add_i32 s2, s15, s2
	v_sub_nc_u32_e32 v78, v58, v78
	s_lshr_b32 s2, s2, s11
	s_clause 0x1
	s_load_b32 s3, s[0:1], 0xec
	s_load_b32 s11, s[0:1], 0xfc
	s_mul_hi_u32 s12, s2, s22
	s_mul_i32 s7, s2, s7
	s_add_i32 s12, s2, s12
	s_sub_i32 s7, s15, s7
	s_lshr_b32 s10, s12, s10
	v_lshl_add_u32 v81, v0, 3, v77
	s_mul_hi_u32 s12, s10, s21
	s_mul_i32 s6, s10, s6
	s_add_i32 s12, s10, s12
	s_sub_i32 s2, s2, s6
	s_lshr_b32 s9, s12, s9
	v_and_or_b32 v80, v59, 4, v78
	s_mul_hi_u32 s6, s9, s20
	s_clause 0x2
	s_load_b32 s15, s[0:1], 0x24
	s_load_b32 s20, s[0:1], 0x50
	;; [unrolled: 1-line block ×3, first 2 shown]
	s_add_i32 s6, s9, s6
	s_mul_i32 s5, s9, s5
	s_lshr_b32 s6, s6, s8
	s_sub_i32 s5, s10, s5
	s_mul_i32 s6, s6, s4
	s_waitcnt lgkmcnt(0)
	s_mul_i32 s5, s5, s11
	s_sub_i32 s4, s9, s6
	s_add_i32 s7, s7, s5
	s_mul_i32 s4, s4, s3
	s_lshl_b32 s3, s7, 7
	s_add_i32 s2, s2, s4
	v_or_b32_e32 v1, s3, v57
	s_lshl_b32 s13, s2, 7
	s_load_b32 s8, s[0:1], 0x90
	v_or_b32_e32 v2, s13, v57
	s_mov_b32 s7, 0x31004000
	s_mov_b32 s9, s19
	;; [unrolled: 1-line block ×3, first 2 shown]
	s_clause 0x1
	s_load_b32 s12, s[0:1], 0xa0
	s_load_b32 s2, s[0:1], 0xd0
	v_mad_u64_u32 v[3:4], null, s14, v60, v[1:2]
	s_lshl_b32 s6, s20, 2
	s_mov_b32 s4, s16
	s_mov_b32 s5, s17
	v_lshlrev_b32_e32 v82, 2, v81
	v_lshlrev_b32_e32 v83, 2, v80
	v_dual_mov_b32 v7, 0 :: v_dual_mov_b32 v18, 0
	s_delay_alu instid0(VALU_DEP_4)
	v_mad_u64_u32 v[4:5], null, s15, v60, v[2:3]
	v_add_nc_u32_e32 v1, s14, v3
	v_dual_mov_b32 v16, 0 :: v_dual_lshlrev_b32 v3, 2, v3
	s_waitcnt lgkmcnt(0)
	s_lshl_b32 s10, s8, 2
	s_mov_b32 s8, s18
	v_lshlrev_b32_e32 v5, 2, v1
	s_delay_alu instid0(VALU_DEP_4) | instskip(SKIP_2) | instid1(VALU_DEP_3)
	v_dual_mov_b32 v9, 0 :: v_dual_add_nc_u32 v2, s15, v4
	v_dual_mov_b32 v11, 0 :: v_dual_lshlrev_b32 v4, 2, v4
	v_dual_mov_b32 v17, 0 :: v_dual_mov_b32 v12, 0
	v_lshlrev_b32_e32 v6, 2, v2
	s_clause 0x1
	buffer_load_b128 v[61:64], v3, s[8:11], 0 offen
	buffer_load_b128 v[65:68], v5, s[8:11], 0 offen
	s_clause 0x1
	buffer_load_b128 v[69:72], v4, s[4:7], 0 offen
	buffer_load_b128 v[73:76], v6, s[4:7], 0 offen
	v_mov_b32_e32 v5, 0
	v_mov_b32_e32 v3, 0
	v_lshl_or_b32 v84, v60, 9, v79
	v_mov_b32_e32 v4, 0
	v_dual_mov_b32 v6, 0 :: v_dual_mov_b32 v19, 0
	v_dual_mov_b32 v14, 0 :: v_dual_mov_b32 v13, 0
	;; [unrolled: 1-line block ×20, first 2 shown]
	v_mov_b32_e32 v60, 0
	s_load_b64 s[0:1], s[0:1], 0x10
	s_lshl_b32 s2, s2, 2
	s_waitcnt vmcnt(3)
	ds_store_b128 v84, v[61:64] offset:16384
	s_waitcnt vmcnt(2)
	ds_store_b128 v84, v[65:68] offset:16896
	s_waitcnt vmcnt(1)
	ds_store_b128 v84, v[69:72]
	s_waitcnt vmcnt(0)
	ds_store_b128 v84, v[73:76] offset:512
	v_mad_u64_u32 v[64:65], null, s15, 15, v[2:3]
	v_mad_u64_u32 v[65:66], null, s14, 15, v[1:2]
	v_mov_b32_e32 v1, 0
	s_waitcnt lgkmcnt(0)
	s_barrier
	s_delay_alu instid0(VALU_DEP_3) | instskip(SKIP_1) | instid1(VALU_DEP_4)
	v_dual_mov_b32 v61, 0 :: v_dual_lshlrev_b32 v66, 2, v64
	v_add_lshl_u32 v68, v64, s15, 2
	v_lshlrev_b32_e32 v72, 2, v65
	v_add_lshl_u32 v76, v65, s14, 2
	v_mov_b32_e32 v62, 0
	ds_load_b128 v[85:88], v82
	ds_load_b128 v[89:92], v83 offset:16384
	s_clause 0x1
	buffer_load_b128 v[64:67], v66, s[4:7], 0 offen
	buffer_load_b128 v[68:71], v68, s[4:7], 0 offen
	ds_load_b128 v[93:96], v83 offset:16640
	s_clause 0x1
	buffer_load_b128 v[72:75], v72, s[8:11], 0 offen
	buffer_load_b128 v[76:79], v76, s[8:11], 0 offen
	v_dual_mov_b32 v63, 0 :: v_dual_mov_b32 v0, 0
	v_mov_b32_e32 v2, 0
	ds_load_b128 v[97:100], v82 offset:256
	s_waitcnt lgkmcnt(2)
	;;#ASMSTART
	
             v_fmac_f32 v8, v85, v89 
             
	;;#ASMEND
	;;#ASMSTART
	
             v_fmac_f32 v9, v85, v90 
             
	;;#ASMEND
	;; [unrolled: 5-line block ×16, first 2 shown]
	s_waitcnt lgkmcnt(1)
	;;#ASMSTART
	
             v_fmac_f32 v28, v85, v93 
             
	;;#ASMEND
	;;#ASMSTART
	
             v_fmac_f32 v29, v85, v94 
             
	;;#ASMEND
	;;#ASMSTART
	
             v_fmac_f32 v30, v85, v95 
             
	;;#ASMEND
	;;#ASMSTART
	
             v_fmac_f32 v31, v85, v96 
             
	;;#ASMEND
	;;#ASMSTART
	
             v_fmac_f32 v24, v86, v93 
             
	;;#ASMEND
	;;#ASMSTART
	
             v_fmac_f32 v25, v86, v94 
             
	;;#ASMEND
	;;#ASMSTART
	
             v_fmac_f32 v26, v86, v95 
             
	;;#ASMEND
	;;#ASMSTART
	
             v_fmac_f32 v27, v86, v96 
             
	;;#ASMEND
	;;#ASMSTART
	
             v_fmac_f32 v36, v87, v93 
             
	;;#ASMEND
	;;#ASMSTART
	
             v_fmac_f32 v37, v87, v94 
             
	;;#ASMEND
	;;#ASMSTART
	
             v_fmac_f32 v38, v87, v95 
             
	;;#ASMEND
	;;#ASMSTART
	
             v_fmac_f32 v39, v87, v96 
             
	;;#ASMEND
	;;#ASMSTART
	
             v_fmac_f32 v32, v88, v93 
             
	;;#ASMEND
	;;#ASMSTART
	
             v_fmac_f32 v33, v88, v94 
             
	;;#ASMEND
	;;#ASMSTART
	
             v_fmac_f32 v34, v88, v95 
             
	;;#ASMEND
	;;#ASMSTART
	
             v_fmac_f32 v35, v88, v96 
             
	;;#ASMEND
	ds_load_b128 v[85:88], v82 offset:512
	s_waitcnt lgkmcnt(1)
	;;#ASMSTART
	
             v_fmac_f32 v20, v97, v89 
             
	;;#ASMEND
	;;#ASMSTART
	
             v_fmac_f32 v21, v97, v90 
             
	;;#ASMEND
	;; [unrolled: 5-line block ×16, first 2 shown]
	ds_load_b128 v[89:92], v83 offset:16896
	;;#ASMSTART
	
             v_fmac_f32 v52, v97, v93 
             
	;;#ASMEND
	;;#ASMSTART
	
             v_fmac_f32 v53, v97, v94 
             
	;;#ASMEND
	;; [unrolled: 5-line block ×16, first 2 shown]
	ds_load_b128 v[93:96], v83 offset:17152
	ds_load_b128 v[97:100], v82 offset:768
	s_waitcnt lgkmcnt(2)
	;;#ASMSTART
	
             v_fmac_f32 v8, v85, v89 
             
	;;#ASMEND
	;;#ASMSTART
	
             v_fmac_f32 v9, v85, v90 
             
	;;#ASMEND
	;; [unrolled: 5-line block ×16, first 2 shown]
	s_waitcnt lgkmcnt(1)
	;;#ASMSTART
	
             v_fmac_f32 v28, v85, v93 
             
	;;#ASMEND
	;;#ASMSTART
	
             v_fmac_f32 v29, v85, v94 
             
	;;#ASMEND
	;; [unrolled: 5-line block ×16, first 2 shown]
	ds_load_b128 v[85:88], v82 offset:1024
	s_waitcnt lgkmcnt(1)
	;;#ASMSTART
	
             v_fmac_f32 v20, v97, v89 
             
	;;#ASMEND
	;;#ASMSTART
	
             v_fmac_f32 v21, v97, v90 
             
	;;#ASMEND
	;; [unrolled: 5-line block ×16, first 2 shown]
	ds_load_b128 v[89:92], v83 offset:17408
	;;#ASMSTART
	
             v_fmac_f32 v52, v97, v93 
             
	;;#ASMEND
	;;#ASMSTART
	
             v_fmac_f32 v53, v97, v94 
             
	;;#ASMEND
	;; [unrolled: 5-line block ×16, first 2 shown]
	ds_load_b128 v[93:96], v83 offset:17664
	ds_load_b128 v[97:100], v82 offset:1280
	s_waitcnt lgkmcnt(2)
	;;#ASMSTART
	
             v_fmac_f32 v8, v85, v89 
             
	;;#ASMEND
	;;#ASMSTART
	
             v_fmac_f32 v9, v85, v90 
             
	;;#ASMEND
	;; [unrolled: 5-line block ×16, first 2 shown]
	s_waitcnt lgkmcnt(1)
	;;#ASMSTART
	
             v_fmac_f32 v28, v85, v93 
             
	;;#ASMEND
	;;#ASMSTART
	
             v_fmac_f32 v29, v85, v94 
             
	;;#ASMEND
	;; [unrolled: 5-line block ×16, first 2 shown]
	ds_load_b128 v[85:88], v82 offset:1536
	s_waitcnt lgkmcnt(1)
	;;#ASMSTART
	
             v_fmac_f32 v20, v97, v89 
             
	;;#ASMEND
	;;#ASMSTART
	
             v_fmac_f32 v21, v97, v90 
             
	;;#ASMEND
	;;#ASMSTART
	
             v_fmac_f32 v22, v97, v91 
             
	;;#ASMEND
	;;#ASMSTART
	
             v_fmac_f32 v23, v97, v92 
             
	;;#ASMEND
	;;#ASMSTART
	
             v_fmac_f32 v40, v98, v89 
             
	;;#ASMEND
	;;#ASMSTART
	
             v_fmac_f32 v41, v98, v90 
             
	;;#ASMEND
	;;#ASMSTART
	
             v_fmac_f32 v42, v98, v91 
             
	;;#ASMEND
	;;#ASMSTART
	
             v_fmac_f32 v43, v98, v92 
             
	;;#ASMEND
	;;#ASMSTART
	
             v_fmac_f32 v44, v99, v89 
             
	;;#ASMEND
	;;#ASMSTART
	
             v_fmac_f32 v45, v99, v90 
             
	;;#ASMEND
	;;#ASMSTART
	
             v_fmac_f32 v46, v99, v91 
             
	;;#ASMEND
	;;#ASMSTART
	
             v_fmac_f32 v47, v99, v92 
             
	;;#ASMEND
	;;#ASMSTART
	
             v_fmac_f32 v48, v100, v89 
             
	;;#ASMEND
	;;#ASMSTART
	
             v_fmac_f32 v49, v100, v90 
             
	;;#ASMEND
	;;#ASMSTART
	
             v_fmac_f32 v50, v100, v91 
             
	;;#ASMEND
	;;#ASMSTART
	
             v_fmac_f32 v51, v100, v92 
             
	;;#ASMEND
	ds_load_b128 v[89:92], v83 offset:17920
	;;#ASMSTART
	
             v_fmac_f32 v52, v97, v93 
             
	;;#ASMEND
	;;#ASMSTART
	
             v_fmac_f32 v53, v97, v94 
             
	;;#ASMEND
	;; [unrolled: 5-line block ×16, first 2 shown]
	ds_load_b128 v[93:96], v83 offset:18176
	ds_load_b128 v[97:100], v82 offset:1792
	s_waitcnt lgkmcnt(2)
	;;#ASMSTART
	
             v_fmac_f32 v8, v85, v89 
             
	;;#ASMEND
	;;#ASMSTART
	
             v_fmac_f32 v9, v85, v90 
             
	;;#ASMEND
	;; [unrolled: 5-line block ×16, first 2 shown]
	s_waitcnt lgkmcnt(1)
	;;#ASMSTART
	
             v_fmac_f32 v28, v85, v93 
             
	;;#ASMEND
	;;#ASMSTART
	
             v_fmac_f32 v29, v85, v94 
             
	;;#ASMEND
	;; [unrolled: 5-line block ×16, first 2 shown]
	ds_load_b128 v[85:88], v82 offset:2048
	s_waitcnt lgkmcnt(1)
	;;#ASMSTART
	
             v_fmac_f32 v20, v97, v89 
             
	;;#ASMEND
	;;#ASMSTART
	
             v_fmac_f32 v21, v97, v90 
             
	;;#ASMEND
	;; [unrolled: 5-line block ×16, first 2 shown]
	ds_load_b128 v[89:92], v83 offset:18432
	;;#ASMSTART
	
             v_fmac_f32 v52, v97, v93 
             
	;;#ASMEND
	;;#ASMSTART
	
             v_fmac_f32 v53, v97, v94 
             
	;;#ASMEND
	;; [unrolled: 5-line block ×16, first 2 shown]
	ds_load_b128 v[93:96], v83 offset:18688
	ds_load_b128 v[97:100], v82 offset:2304
	s_waitcnt lgkmcnt(2)
	;;#ASMSTART
	
             v_fmac_f32 v8, v85, v89 
             
	;;#ASMEND
	;;#ASMSTART
	
             v_fmac_f32 v9, v85, v90 
             
	;;#ASMEND
	;; [unrolled: 5-line block ×16, first 2 shown]
	s_waitcnt lgkmcnt(1)
	;;#ASMSTART
	
             v_fmac_f32 v28, v85, v93 
             
	;;#ASMEND
	;;#ASMSTART
	
             v_fmac_f32 v29, v85, v94 
             
	;;#ASMEND
	;; [unrolled: 5-line block ×16, first 2 shown]
	ds_load_b128 v[85:88], v82 offset:2560
	s_waitcnt lgkmcnt(1)
	;;#ASMSTART
	
             v_fmac_f32 v20, v97, v89 
             
	;;#ASMEND
	;;#ASMSTART
	
             v_fmac_f32 v21, v97, v90 
             
	;;#ASMEND
	;; [unrolled: 5-line block ×16, first 2 shown]
	ds_load_b128 v[89:92], v83 offset:18944
	;;#ASMSTART
	
             v_fmac_f32 v52, v97, v93 
             
	;;#ASMEND
	;;#ASMSTART
	
             v_fmac_f32 v53, v97, v94 
             
	;;#ASMEND
	;;#ASMSTART
	
             v_fmac_f32 v54, v97, v95 
             
	;;#ASMEND
	;;#ASMSTART
	
             v_fmac_f32 v55, v97, v96 
             
	;;#ASMEND
	;;#ASMSTART
	
             v_fmac_f32 v56, v98, v93 
             
	;;#ASMEND
	;;#ASMSTART
	
             v_fmac_f32 v57, v98, v94 
             
	;;#ASMEND
	;;#ASMSTART
	
             v_fmac_f32 v58, v98, v95 
             
	;;#ASMEND
	;;#ASMSTART
	
             v_fmac_f32 v59, v98, v96 
             
	;;#ASMEND
	;;#ASMSTART
	
             v_fmac_f32 v60, v99, v93 
             
	;;#ASMEND
	;;#ASMSTART
	
             v_fmac_f32 v61, v99, v94 
             
	;;#ASMEND
	;;#ASMSTART
	
             v_fmac_f32 v62, v99, v95 
             
	;;#ASMEND
	;;#ASMSTART
	
             v_fmac_f32 v63, v99, v96 
             
	;;#ASMEND
	;;#ASMSTART
	
             v_fmac_f32 v0, v100, v93 
             
	;;#ASMEND
	;;#ASMSTART
	
             v_fmac_f32 v1, v100, v94 
             
	;;#ASMEND
	;;#ASMSTART
	
             v_fmac_f32 v2, v100, v95 
             
	;;#ASMEND
	;;#ASMSTART
	
             v_fmac_f32 v3, v100, v96 
             
	;;#ASMEND
	ds_load_b128 v[93:96], v83 offset:19200
	ds_load_b128 v[97:100], v82 offset:2816
	s_waitcnt lgkmcnt(2)
	;;#ASMSTART
	
             v_fmac_f32 v8, v85, v89 
             
	;;#ASMEND
	;;#ASMSTART
	
             v_fmac_f32 v9, v85, v90 
             
	;;#ASMEND
	;;#ASMSTART
	
             v_fmac_f32 v10, v85, v91 
             
	;;#ASMEND
	;;#ASMSTART
	
             v_fmac_f32 v11, v85, v92 
             
	;;#ASMEND
	;;#ASMSTART
	
             v_fmac_f32 v4, v86, v89 
             
	;;#ASMEND
	;;#ASMSTART
	
             v_fmac_f32 v5, v86, v90 
             
	;;#ASMEND
	;;#ASMSTART
	
             v_fmac_f32 v6, v86, v91 
             
	;;#ASMEND
	;;#ASMSTART
	
             v_fmac_f32 v7, v86, v92 
             
	;;#ASMEND
	;;#ASMSTART
	
             v_fmac_f32 v16, v87, v89 
             
	;;#ASMEND
	;;#ASMSTART
	
             v_fmac_f32 v17, v87, v90 
             
	;;#ASMEND
	;;#ASMSTART
	
             v_fmac_f32 v18, v87, v91 
             
	;;#ASMEND
	;;#ASMSTART
	
             v_fmac_f32 v19, v87, v92 
             
	;;#ASMEND
	;;#ASMSTART
	
             v_fmac_f32 v12, v88, v89 
             
	;;#ASMEND
	;;#ASMSTART
	
             v_fmac_f32 v13, v88, v90 
             
	;;#ASMEND
	;;#ASMSTART
	
             v_fmac_f32 v14, v88, v91 
             
	;;#ASMEND
	;;#ASMSTART
	
             v_fmac_f32 v15, v88, v92 
             
	;;#ASMEND
	s_waitcnt lgkmcnt(1)
	;;#ASMSTART
	
             v_fmac_f32 v28, v85, v93 
             
	;;#ASMEND
	;;#ASMSTART
	
             v_fmac_f32 v29, v85, v94 
             
	;;#ASMEND
	;; [unrolled: 5-line block ×16, first 2 shown]
	ds_load_b128 v[85:88], v82 offset:3072
	s_waitcnt lgkmcnt(1)
	;;#ASMSTART
	
             v_fmac_f32 v20, v97, v89 
             
	;;#ASMEND
	;;#ASMSTART
	
             v_fmac_f32 v21, v97, v90 
             
	;;#ASMEND
	;; [unrolled: 5-line block ×16, first 2 shown]
	ds_load_b128 v[89:92], v83 offset:19456
	;;#ASMSTART
	
             v_fmac_f32 v52, v97, v93 
             
	;;#ASMEND
	;;#ASMSTART
	
             v_fmac_f32 v53, v97, v94 
             
	;;#ASMEND
	;; [unrolled: 5-line block ×16, first 2 shown]
	ds_load_b128 v[93:96], v83 offset:19712
	ds_load_b128 v[97:100], v82 offset:3328
	s_waitcnt lgkmcnt(2)
	;;#ASMSTART
	
             v_fmac_f32 v8, v85, v89 
             
	;;#ASMEND
	;;#ASMSTART
	
             v_fmac_f32 v9, v85, v90 
             
	;;#ASMEND
	;; [unrolled: 5-line block ×16, first 2 shown]
	s_waitcnt lgkmcnt(1)
	;;#ASMSTART
	
             v_fmac_f32 v28, v85, v93 
             
	;;#ASMEND
	;;#ASMSTART
	
             v_fmac_f32 v29, v85, v94 
             
	;;#ASMEND
	;; [unrolled: 5-line block ×16, first 2 shown]
	ds_load_b128 v[85:88], v82 offset:3584
	s_waitcnt lgkmcnt(1)
	;;#ASMSTART
	
             v_fmac_f32 v20, v97, v89 
             
	;;#ASMEND
	;;#ASMSTART
	
             v_fmac_f32 v21, v97, v90 
             
	;;#ASMEND
	;; [unrolled: 5-line block ×16, first 2 shown]
	ds_load_b128 v[89:92], v83 offset:19968
	;;#ASMSTART
	
             v_fmac_f32 v52, v97, v93 
             
	;;#ASMEND
	;;#ASMSTART
	
             v_fmac_f32 v53, v97, v94 
             
	;;#ASMEND
	;; [unrolled: 5-line block ×16, first 2 shown]
	ds_load_b128 v[93:96], v83 offset:20224
	ds_load_b128 v[97:100], v82 offset:3840
	s_waitcnt lgkmcnt(2)
	;;#ASMSTART
	
             v_fmac_f32 v8, v85, v89 
             
	;;#ASMEND
	;;#ASMSTART
	
             v_fmac_f32 v9, v85, v90 
             
	;;#ASMEND
	;; [unrolled: 5-line block ×16, first 2 shown]
	s_waitcnt lgkmcnt(1)
	;;#ASMSTART
	
             v_fmac_f32 v28, v85, v93 
             
	;;#ASMEND
	;;#ASMSTART
	
             v_fmac_f32 v29, v85, v94 
             
	;;#ASMEND
	;;#ASMSTART
	
             v_fmac_f32 v30, v85, v95 
             
	;;#ASMEND
	;;#ASMSTART
	
             v_fmac_f32 v31, v85, v96 
             
	;;#ASMEND
	;;#ASMSTART
	
             v_fmac_f32 v24, v86, v93 
             
	;;#ASMEND
	;;#ASMSTART
	
             v_fmac_f32 v25, v86, v94 
             
	;;#ASMEND
	;;#ASMSTART
	
             v_fmac_f32 v26, v86, v95 
             
	;;#ASMEND
	;;#ASMSTART
	
             v_fmac_f32 v27, v86, v96 
             
	;;#ASMEND
	;;#ASMSTART
	
             v_fmac_f32 v36, v87, v93 
             
	;;#ASMEND
	;;#ASMSTART
	
             v_fmac_f32 v37, v87, v94 
             
	;;#ASMEND
	;;#ASMSTART
	
             v_fmac_f32 v38, v87, v95 
             
	;;#ASMEND
	;;#ASMSTART
	
             v_fmac_f32 v39, v87, v96 
             
	;;#ASMEND
	;;#ASMSTART
	
             v_fmac_f32 v32, v88, v93 
             
	;;#ASMEND
	;;#ASMSTART
	
             v_fmac_f32 v33, v88, v94 
             
	;;#ASMEND
	;;#ASMSTART
	
             v_fmac_f32 v34, v88, v95 
             
	;;#ASMEND
	;;#ASMSTART
	
             v_fmac_f32 v35, v88, v96 
             
	;;#ASMEND
	ds_load_b128 v[85:88], v82 offset:4096
	s_waitcnt lgkmcnt(1)
	;;#ASMSTART
	
             v_fmac_f32 v20, v97, v89 
             
	;;#ASMEND
	;;#ASMSTART
	
             v_fmac_f32 v21, v97, v90 
             
	;;#ASMEND
	;; [unrolled: 5-line block ×16, first 2 shown]
	ds_load_b128 v[89:92], v83 offset:20480
	;;#ASMSTART
	
             v_fmac_f32 v52, v97, v93 
             
	;;#ASMEND
	;;#ASMSTART
	
             v_fmac_f32 v53, v97, v94 
             
	;;#ASMEND
	;; [unrolled: 5-line block ×16, first 2 shown]
	ds_load_b128 v[93:96], v83 offset:20736
	ds_load_b128 v[97:100], v82 offset:4352
	s_waitcnt lgkmcnt(2)
	;;#ASMSTART
	
             v_fmac_f32 v8, v85, v89 
             
	;;#ASMEND
	;;#ASMSTART
	
             v_fmac_f32 v9, v85, v90 
             
	;;#ASMEND
	;; [unrolled: 5-line block ×16, first 2 shown]
	s_waitcnt lgkmcnt(1)
	;;#ASMSTART
	
             v_fmac_f32 v28, v85, v93 
             
	;;#ASMEND
	;;#ASMSTART
	
             v_fmac_f32 v29, v85, v94 
             
	;;#ASMEND
	;; [unrolled: 5-line block ×16, first 2 shown]
	ds_load_b128 v[85:88], v82 offset:4608
	s_waitcnt lgkmcnt(1)
	;;#ASMSTART
	
             v_fmac_f32 v20, v97, v89 
             
	;;#ASMEND
	;;#ASMSTART
	
             v_fmac_f32 v21, v97, v90 
             
	;;#ASMEND
	;; [unrolled: 5-line block ×16, first 2 shown]
	ds_load_b128 v[89:92], v83 offset:20992
	;;#ASMSTART
	
             v_fmac_f32 v52, v97, v93 
             
	;;#ASMEND
	;;#ASMSTART
	
             v_fmac_f32 v53, v97, v94 
             
	;;#ASMEND
	;; [unrolled: 5-line block ×16, first 2 shown]
	ds_load_b128 v[93:96], v83 offset:21248
	ds_load_b128 v[97:100], v82 offset:4864
	s_waitcnt lgkmcnt(2)
	;;#ASMSTART
	
             v_fmac_f32 v8, v85, v89 
             
	;;#ASMEND
	;;#ASMSTART
	
             v_fmac_f32 v9, v85, v90 
             
	;;#ASMEND
	;; [unrolled: 5-line block ×16, first 2 shown]
	s_waitcnt lgkmcnt(1)
	;;#ASMSTART
	
             v_fmac_f32 v28, v85, v93 
             
	;;#ASMEND
	;;#ASMSTART
	
             v_fmac_f32 v29, v85, v94 
             
	;;#ASMEND
	;;#ASMSTART
	
             v_fmac_f32 v30, v85, v95 
             
	;;#ASMEND
	;;#ASMSTART
	
             v_fmac_f32 v31, v85, v96 
             
	;;#ASMEND
	;;#ASMSTART
	
             v_fmac_f32 v24, v86, v93 
             
	;;#ASMEND
	;;#ASMSTART
	
             v_fmac_f32 v25, v86, v94 
             
	;;#ASMEND
	;;#ASMSTART
	
             v_fmac_f32 v26, v86, v95 
             
	;;#ASMEND
	;;#ASMSTART
	
             v_fmac_f32 v27, v86, v96 
             
	;;#ASMEND
	;;#ASMSTART
	
             v_fmac_f32 v36, v87, v93 
             
	;;#ASMEND
	;;#ASMSTART
	
             v_fmac_f32 v37, v87, v94 
             
	;;#ASMEND
	;;#ASMSTART
	
             v_fmac_f32 v38, v87, v95 
             
	;;#ASMEND
	;;#ASMSTART
	
             v_fmac_f32 v39, v87, v96 
             
	;;#ASMEND
	;;#ASMSTART
	
             v_fmac_f32 v32, v88, v93 
             
	;;#ASMEND
	;;#ASMSTART
	
             v_fmac_f32 v33, v88, v94 
             
	;;#ASMEND
	;;#ASMSTART
	
             v_fmac_f32 v34, v88, v95 
             
	;;#ASMEND
	;;#ASMSTART
	
             v_fmac_f32 v35, v88, v96 
             
	;;#ASMEND
	ds_load_b128 v[85:88], v82 offset:5120
	s_waitcnt lgkmcnt(1)
	;;#ASMSTART
	
             v_fmac_f32 v20, v97, v89 
             
	;;#ASMEND
	;;#ASMSTART
	
             v_fmac_f32 v21, v97, v90 
             
	;;#ASMEND
	;; [unrolled: 5-line block ×16, first 2 shown]
	ds_load_b128 v[89:92], v83 offset:21504
	;;#ASMSTART
	
             v_fmac_f32 v52, v97, v93 
             
	;;#ASMEND
	;;#ASMSTART
	
             v_fmac_f32 v53, v97, v94 
             
	;;#ASMEND
	;; [unrolled: 5-line block ×16, first 2 shown]
	ds_load_b128 v[93:96], v83 offset:21760
	ds_load_b128 v[97:100], v82 offset:5376
	s_waitcnt lgkmcnt(2)
	;;#ASMSTART
	
             v_fmac_f32 v8, v85, v89 
             
	;;#ASMEND
	;;#ASMSTART
	
             v_fmac_f32 v9, v85, v90 
             
	;;#ASMEND
	;; [unrolled: 5-line block ×16, first 2 shown]
	s_waitcnt lgkmcnt(1)
	;;#ASMSTART
	
             v_fmac_f32 v28, v85, v93 
             
	;;#ASMEND
	;;#ASMSTART
	
             v_fmac_f32 v29, v85, v94 
             
	;;#ASMEND
	;; [unrolled: 5-line block ×16, first 2 shown]
	ds_load_b128 v[85:88], v82 offset:5632
	s_waitcnt lgkmcnt(1)
	;;#ASMSTART
	
             v_fmac_f32 v20, v97, v89 
             
	;;#ASMEND
	;;#ASMSTART
	
             v_fmac_f32 v21, v97, v90 
             
	;;#ASMEND
	;; [unrolled: 5-line block ×16, first 2 shown]
	ds_load_b128 v[89:92], v83 offset:22016
	;;#ASMSTART
	
             v_fmac_f32 v52, v97, v93 
             
	;;#ASMEND
	;;#ASMSTART
	
             v_fmac_f32 v53, v97, v94 
             
	;;#ASMEND
	;; [unrolled: 5-line block ×16, first 2 shown]
	ds_load_b128 v[93:96], v83 offset:22272
	ds_load_b128 v[97:100], v82 offset:5888
	s_waitcnt lgkmcnt(2)
	;;#ASMSTART
	
             v_fmac_f32 v8, v85, v89 
             
	;;#ASMEND
	;;#ASMSTART
	
             v_fmac_f32 v9, v85, v90 
             
	;;#ASMEND
	;; [unrolled: 5-line block ×16, first 2 shown]
	s_waitcnt lgkmcnt(1)
	;;#ASMSTART
	
             v_fmac_f32 v28, v85, v93 
             
	;;#ASMEND
	;;#ASMSTART
	
             v_fmac_f32 v29, v85, v94 
             
	;;#ASMEND
	;; [unrolled: 5-line block ×16, first 2 shown]
	ds_load_b128 v[85:88], v82 offset:6144
	s_waitcnt lgkmcnt(1)
	;;#ASMSTART
	
             v_fmac_f32 v20, v97, v89 
             
	;;#ASMEND
	;;#ASMSTART
	
             v_fmac_f32 v21, v97, v90 
             
	;;#ASMEND
	;;#ASMSTART
	
             v_fmac_f32 v22, v97, v91 
             
	;;#ASMEND
	;;#ASMSTART
	
             v_fmac_f32 v23, v97, v92 
             
	;;#ASMEND
	;;#ASMSTART
	
             v_fmac_f32 v40, v98, v89 
             
	;;#ASMEND
	;;#ASMSTART
	
             v_fmac_f32 v41, v98, v90 
             
	;;#ASMEND
	;;#ASMSTART
	
             v_fmac_f32 v42, v98, v91 
             
	;;#ASMEND
	;;#ASMSTART
	
             v_fmac_f32 v43, v98, v92 
             
	;;#ASMEND
	;;#ASMSTART
	
             v_fmac_f32 v44, v99, v89 
             
	;;#ASMEND
	;;#ASMSTART
	
             v_fmac_f32 v45, v99, v90 
             
	;;#ASMEND
	;;#ASMSTART
	
             v_fmac_f32 v46, v99, v91 
             
	;;#ASMEND
	;;#ASMSTART
	
             v_fmac_f32 v47, v99, v92 
             
	;;#ASMEND
	;;#ASMSTART
	
             v_fmac_f32 v48, v100, v89 
             
	;;#ASMEND
	;;#ASMSTART
	
             v_fmac_f32 v49, v100, v90 
             
	;;#ASMEND
	;;#ASMSTART
	
             v_fmac_f32 v50, v100, v91 
             
	;;#ASMEND
	;;#ASMSTART
	
             v_fmac_f32 v51, v100, v92 
             
	;;#ASMEND
	ds_load_b128 v[89:92], v83 offset:22528
	;;#ASMSTART
	
             v_fmac_f32 v52, v97, v93 
             
	;;#ASMEND
	;;#ASMSTART
	
             v_fmac_f32 v53, v97, v94 
             
	;;#ASMEND
	;; [unrolled: 5-line block ×16, first 2 shown]
	ds_load_b128 v[93:96], v83 offset:22784
	ds_load_b128 v[97:100], v82 offset:6400
	s_waitcnt lgkmcnt(2)
	;;#ASMSTART
	
             v_fmac_f32 v8, v85, v89 
             
	;;#ASMEND
	;;#ASMSTART
	
             v_fmac_f32 v9, v85, v90 
             
	;;#ASMEND
	;; [unrolled: 5-line block ×16, first 2 shown]
	s_waitcnt lgkmcnt(1)
	;;#ASMSTART
	
             v_fmac_f32 v28, v85, v93 
             
	;;#ASMEND
	;;#ASMSTART
	
             v_fmac_f32 v29, v85, v94 
             
	;;#ASMEND
	;; [unrolled: 5-line block ×16, first 2 shown]
	ds_load_b128 v[85:88], v82 offset:6656
	s_waitcnt lgkmcnt(1)
	;;#ASMSTART
	
             v_fmac_f32 v20, v97, v89 
             
	;;#ASMEND
	;;#ASMSTART
	
             v_fmac_f32 v21, v97, v90 
             
	;;#ASMEND
	;; [unrolled: 5-line block ×16, first 2 shown]
	ds_load_b128 v[89:92], v83 offset:23040
	;;#ASMSTART
	
             v_fmac_f32 v52, v97, v93 
             
	;;#ASMEND
	;;#ASMSTART
	
             v_fmac_f32 v53, v97, v94 
             
	;;#ASMEND
	;; [unrolled: 5-line block ×16, first 2 shown]
	ds_load_b128 v[93:96], v83 offset:23296
	ds_load_b128 v[97:100], v82 offset:6912
	s_waitcnt lgkmcnt(2)
	;;#ASMSTART
	
             v_fmac_f32 v8, v85, v89 
             
	;;#ASMEND
	;;#ASMSTART
	
             v_fmac_f32 v9, v85, v90 
             
	;;#ASMEND
	;; [unrolled: 5-line block ×16, first 2 shown]
	s_waitcnt lgkmcnt(1)
	;;#ASMSTART
	
             v_fmac_f32 v28, v85, v93 
             
	;;#ASMEND
	;;#ASMSTART
	
             v_fmac_f32 v29, v85, v94 
             
	;;#ASMEND
	;; [unrolled: 5-line block ×16, first 2 shown]
	ds_load_b128 v[85:88], v82 offset:7168
	s_waitcnt lgkmcnt(1)
	;;#ASMSTART
	
             v_fmac_f32 v20, v97, v89 
             
	;;#ASMEND
	;;#ASMSTART
	
             v_fmac_f32 v21, v97, v90 
             
	;;#ASMEND
	;; [unrolled: 5-line block ×16, first 2 shown]
	ds_load_b128 v[89:92], v83 offset:23552
	;;#ASMSTART
	
             v_fmac_f32 v52, v97, v93 
             
	;;#ASMEND
	;;#ASMSTART
	
             v_fmac_f32 v53, v97, v94 
             
	;;#ASMEND
	;; [unrolled: 5-line block ×16, first 2 shown]
	ds_load_b128 v[93:96], v83 offset:23808
	ds_load_b128 v[97:100], v82 offset:7424
	s_waitcnt lgkmcnt(2)
	;;#ASMSTART
	
             v_fmac_f32 v8, v85, v89 
             
	;;#ASMEND
	;;#ASMSTART
	
             v_fmac_f32 v9, v85, v90 
             
	;;#ASMEND
	;; [unrolled: 5-line block ×16, first 2 shown]
	s_waitcnt lgkmcnt(1)
	;;#ASMSTART
	
             v_fmac_f32 v28, v85, v93 
             
	;;#ASMEND
	;;#ASMSTART
	
             v_fmac_f32 v29, v85, v94 
             
	;;#ASMEND
	;; [unrolled: 5-line block ×16, first 2 shown]
	ds_load_b128 v[85:88], v82 offset:7680
	s_waitcnt lgkmcnt(1)
	;;#ASMSTART
	
             v_fmac_f32 v20, v97, v89 
             
	;;#ASMEND
	;;#ASMSTART
	
             v_fmac_f32 v21, v97, v90 
             
	;;#ASMEND
	;; [unrolled: 5-line block ×16, first 2 shown]
	ds_load_b128 v[89:92], v83 offset:24064
	;;#ASMSTART
	
             v_fmac_f32 v52, v97, v93 
             
	;;#ASMEND
	;;#ASMSTART
	
             v_fmac_f32 v53, v97, v94 
             
	;;#ASMEND
	;; [unrolled: 5-line block ×16, first 2 shown]
	ds_load_b128 v[93:96], v83 offset:24320
	ds_load_b128 v[97:100], v82 offset:7936
	s_waitcnt lgkmcnt(2)
	;;#ASMSTART
	
             v_fmac_f32 v8, v85, v89 
             
	;;#ASMEND
	;;#ASMSTART
	
             v_fmac_f32 v9, v85, v90 
             
	;;#ASMEND
	;; [unrolled: 5-line block ×16, first 2 shown]
	s_waitcnt lgkmcnt(1)
	;;#ASMSTART
	
             v_fmac_f32 v28, v85, v93 
             
	;;#ASMEND
	;;#ASMSTART
	
             v_fmac_f32 v29, v85, v94 
             
	;;#ASMEND
	;; [unrolled: 5-line block ×16, first 2 shown]
	s_waitcnt lgkmcnt(0)
	;;#ASMSTART
	
             v_fmac_f32 v20, v97, v89 
             
	;;#ASMEND
	;;#ASMSTART
	
             v_fmac_f32 v21, v97, v90 
             
	;;#ASMEND
	;; [unrolled: 5-line block ×32, first 2 shown]
	s_waitcnt vmcnt(3)
	ds_store_b128 v84, v[64:67] offset:8192
	s_waitcnt vmcnt(2)
	ds_store_b128 v84, v[68:71] offset:8704
	s_waitcnt vmcnt(1)
	ds_store_b128 v84, v[72:75] offset:24576
	s_waitcnt vmcnt(0)
	ds_store_b128 v84, v[76:79] offset:25088
	s_waitcnt lgkmcnt(0)
	s_barrier
	ds_load_b128 v[64:67], v82 offset:8192
	ds_load_b128 v[68:71], v83 offset:24576
	;; [unrolled: 1-line block ×4, first 2 shown]
	s_waitcnt lgkmcnt(2)
	;;#ASMSTART
	
             v_fmac_f32 v8, v64, v68 
             
	;;#ASMEND
	;;#ASMSTART
	
             v_fmac_f32 v9, v64, v69 
             
	;;#ASMEND
	;; [unrolled: 5-line block ×16, first 2 shown]
	s_waitcnt lgkmcnt(1)
	;;#ASMSTART
	
             v_fmac_f32 v28, v64, v72 
             
	;;#ASMEND
	;;#ASMSTART
	
             v_fmac_f32 v29, v64, v73 
             
	;;#ASMEND
	;; [unrolled: 5-line block ×16, first 2 shown]
	ds_load_b128 v[64:67], v82 offset:8704
	s_waitcnt lgkmcnt(1)
	;;#ASMSTART
	
             v_fmac_f32 v20, v76, v68 
             
	;;#ASMEND
	;;#ASMSTART
	
             v_fmac_f32 v21, v76, v69 
             
	;;#ASMEND
	;; [unrolled: 5-line block ×16, first 2 shown]
	ds_load_b128 v[68:71], v83 offset:25088
	;;#ASMSTART
	
             v_fmac_f32 v52, v76, v72 
             
	;;#ASMEND
	;;#ASMSTART
	
             v_fmac_f32 v53, v76, v73 
             
	;;#ASMEND
	;; [unrolled: 5-line block ×16, first 2 shown]
	ds_load_b128 v[72:75], v83 offset:25344
	ds_load_b128 v[76:79], v82 offset:8960
	s_waitcnt lgkmcnt(2)
	;;#ASMSTART
	
             v_fmac_f32 v8, v64, v68 
             
	;;#ASMEND
	;;#ASMSTART
	
             v_fmac_f32 v9, v64, v69 
             
	;;#ASMEND
	;; [unrolled: 5-line block ×16, first 2 shown]
	s_waitcnt lgkmcnt(1)
	;;#ASMSTART
	
             v_fmac_f32 v28, v64, v72 
             
	;;#ASMEND
	;;#ASMSTART
	
             v_fmac_f32 v29, v64, v73 
             
	;;#ASMEND
	;; [unrolled: 5-line block ×16, first 2 shown]
	ds_load_b128 v[64:67], v82 offset:9216
	s_waitcnt lgkmcnt(1)
	;;#ASMSTART
	
             v_fmac_f32 v20, v76, v68 
             
	;;#ASMEND
	;;#ASMSTART
	
             v_fmac_f32 v21, v76, v69 
             
	;;#ASMEND
	;;#ASMSTART
	
             v_fmac_f32 v22, v76, v70 
             
	;;#ASMEND
	;;#ASMSTART
	
             v_fmac_f32 v23, v76, v71 
             
	;;#ASMEND
	;;#ASMSTART
	
             v_fmac_f32 v40, v77, v68 
             
	;;#ASMEND
	;;#ASMSTART
	
             v_fmac_f32 v41, v77, v69 
             
	;;#ASMEND
	;;#ASMSTART
	
             v_fmac_f32 v42, v77, v70 
             
	;;#ASMEND
	;;#ASMSTART
	
             v_fmac_f32 v43, v77, v71 
             
	;;#ASMEND
	;;#ASMSTART
	
             v_fmac_f32 v44, v78, v68 
             
	;;#ASMEND
	;;#ASMSTART
	
             v_fmac_f32 v45, v78, v69 
             
	;;#ASMEND
	;;#ASMSTART
	
             v_fmac_f32 v46, v78, v70 
             
	;;#ASMEND
	;;#ASMSTART
	
             v_fmac_f32 v47, v78, v71 
             
	;;#ASMEND
	;;#ASMSTART
	
             v_fmac_f32 v48, v79, v68 
             
	;;#ASMEND
	;;#ASMSTART
	
             v_fmac_f32 v49, v79, v69 
             
	;;#ASMEND
	;;#ASMSTART
	
             v_fmac_f32 v50, v79, v70 
             
	;;#ASMEND
	;;#ASMSTART
	
             v_fmac_f32 v51, v79, v71 
             
	;;#ASMEND
	ds_load_b128 v[68:71], v83 offset:25600
	;;#ASMSTART
	
             v_fmac_f32 v52, v76, v72 
             
	;;#ASMEND
	;;#ASMSTART
	
             v_fmac_f32 v53, v76, v73 
             
	;;#ASMEND
	;; [unrolled: 5-line block ×16, first 2 shown]
	ds_load_b128 v[72:75], v83 offset:25856
	ds_load_b128 v[76:79], v82 offset:9472
	s_waitcnt lgkmcnt(2)
	;;#ASMSTART
	
             v_fmac_f32 v8, v64, v68 
             
	;;#ASMEND
	;;#ASMSTART
	
             v_fmac_f32 v9, v64, v69 
             
	;;#ASMEND
	;; [unrolled: 5-line block ×16, first 2 shown]
	s_waitcnt lgkmcnt(1)
	;;#ASMSTART
	
             v_fmac_f32 v28, v64, v72 
             
	;;#ASMEND
	;;#ASMSTART
	
             v_fmac_f32 v29, v64, v73 
             
	;;#ASMEND
	;; [unrolled: 5-line block ×16, first 2 shown]
	ds_load_b128 v[64:67], v82 offset:9728
	s_waitcnt lgkmcnt(1)
	;;#ASMSTART
	
             v_fmac_f32 v20, v76, v68 
             
	;;#ASMEND
	;;#ASMSTART
	
             v_fmac_f32 v21, v76, v69 
             
	;;#ASMEND
	;; [unrolled: 5-line block ×16, first 2 shown]
	ds_load_b128 v[68:71], v83 offset:26112
	;;#ASMSTART
	
             v_fmac_f32 v52, v76, v72 
             
	;;#ASMEND
	;;#ASMSTART
	
             v_fmac_f32 v53, v76, v73 
             
	;;#ASMEND
	;;#ASMSTART
	
             v_fmac_f32 v54, v76, v74 
             
	;;#ASMEND
	;;#ASMSTART
	
             v_fmac_f32 v55, v76, v75 
             
	;;#ASMEND
	;;#ASMSTART
	
             v_fmac_f32 v56, v77, v72 
             
	;;#ASMEND
	;;#ASMSTART
	
             v_fmac_f32 v57, v77, v73 
             
	;;#ASMEND
	;;#ASMSTART
	
             v_fmac_f32 v58, v77, v74 
             
	;;#ASMEND
	;;#ASMSTART
	
             v_fmac_f32 v59, v77, v75 
             
	;;#ASMEND
	;;#ASMSTART
	
             v_fmac_f32 v60, v78, v72 
             
	;;#ASMEND
	;;#ASMSTART
	
             v_fmac_f32 v61, v78, v73 
             
	;;#ASMEND
	;;#ASMSTART
	
             v_fmac_f32 v62, v78, v74 
             
	;;#ASMEND
	;;#ASMSTART
	
             v_fmac_f32 v63, v78, v75 
             
	;;#ASMEND
	;;#ASMSTART
	
             v_fmac_f32 v0, v79, v72 
             
	;;#ASMEND
	;;#ASMSTART
	
             v_fmac_f32 v1, v79, v73 
             
	;;#ASMEND
	;;#ASMSTART
	
             v_fmac_f32 v2, v79, v74 
             
	;;#ASMEND
	;;#ASMSTART
	
             v_fmac_f32 v3, v79, v75 
             
	;;#ASMEND
	ds_load_b128 v[72:75], v83 offset:26368
	ds_load_b128 v[76:79], v82 offset:9984
	s_waitcnt lgkmcnt(2)
	;;#ASMSTART
	
             v_fmac_f32 v8, v64, v68 
             
	;;#ASMEND
	;;#ASMSTART
	
             v_fmac_f32 v9, v64, v69 
             
	;;#ASMEND
	;; [unrolled: 5-line block ×16, first 2 shown]
	s_waitcnt lgkmcnt(1)
	;;#ASMSTART
	
             v_fmac_f32 v28, v64, v72 
             
	;;#ASMEND
	;;#ASMSTART
	
             v_fmac_f32 v29, v64, v73 
             
	;;#ASMEND
	;; [unrolled: 5-line block ×16, first 2 shown]
	ds_load_b128 v[64:67], v82 offset:10240
	s_waitcnt lgkmcnt(1)
	;;#ASMSTART
	
             v_fmac_f32 v20, v76, v68 
             
	;;#ASMEND
	;;#ASMSTART
	
             v_fmac_f32 v21, v76, v69 
             
	;;#ASMEND
	;;#ASMSTART
	
             v_fmac_f32 v22, v76, v70 
             
	;;#ASMEND
	;;#ASMSTART
	
             v_fmac_f32 v23, v76, v71 
             
	;;#ASMEND
	;;#ASMSTART
	
             v_fmac_f32 v40, v77, v68 
             
	;;#ASMEND
	;;#ASMSTART
	
             v_fmac_f32 v41, v77, v69 
             
	;;#ASMEND
	;;#ASMSTART
	
             v_fmac_f32 v42, v77, v70 
             
	;;#ASMEND
	;;#ASMSTART
	
             v_fmac_f32 v43, v77, v71 
             
	;;#ASMEND
	;;#ASMSTART
	
             v_fmac_f32 v44, v78, v68 
             
	;;#ASMEND
	;;#ASMSTART
	
             v_fmac_f32 v45, v78, v69 
             
	;;#ASMEND
	;;#ASMSTART
	
             v_fmac_f32 v46, v78, v70 
             
	;;#ASMEND
	;;#ASMSTART
	
             v_fmac_f32 v47, v78, v71 
             
	;;#ASMEND
	;;#ASMSTART
	
             v_fmac_f32 v48, v79, v68 
             
	;;#ASMEND
	;;#ASMSTART
	
             v_fmac_f32 v49, v79, v69 
             
	;;#ASMEND
	;;#ASMSTART
	
             v_fmac_f32 v50, v79, v70 
             
	;;#ASMEND
	;;#ASMSTART
	
             v_fmac_f32 v51, v79, v71 
             
	;;#ASMEND
	ds_load_b128 v[68:71], v83 offset:26624
	;;#ASMSTART
	
             v_fmac_f32 v52, v76, v72 
             
	;;#ASMEND
	;;#ASMSTART
	
             v_fmac_f32 v53, v76, v73 
             
	;;#ASMEND
	;; [unrolled: 5-line block ×16, first 2 shown]
	ds_load_b128 v[72:75], v83 offset:26880
	ds_load_b128 v[76:79], v82 offset:10496
	s_waitcnt lgkmcnt(2)
	;;#ASMSTART
	
             v_fmac_f32 v8, v64, v68 
             
	;;#ASMEND
	;;#ASMSTART
	
             v_fmac_f32 v9, v64, v69 
             
	;;#ASMEND
	;; [unrolled: 5-line block ×16, first 2 shown]
	s_waitcnt lgkmcnt(1)
	;;#ASMSTART
	
             v_fmac_f32 v28, v64, v72 
             
	;;#ASMEND
	;;#ASMSTART
	
             v_fmac_f32 v29, v64, v73 
             
	;;#ASMEND
	;; [unrolled: 5-line block ×16, first 2 shown]
	ds_load_b128 v[64:67], v82 offset:10752
	s_waitcnt lgkmcnt(1)
	;;#ASMSTART
	
             v_fmac_f32 v20, v76, v68 
             
	;;#ASMEND
	;;#ASMSTART
	
             v_fmac_f32 v21, v76, v69 
             
	;;#ASMEND
	;; [unrolled: 5-line block ×16, first 2 shown]
	ds_load_b128 v[68:71], v83 offset:27136
	;;#ASMSTART
	
             v_fmac_f32 v52, v76, v72 
             
	;;#ASMEND
	;;#ASMSTART
	
             v_fmac_f32 v53, v76, v73 
             
	;;#ASMEND
	;; [unrolled: 5-line block ×16, first 2 shown]
	ds_load_b128 v[72:75], v83 offset:27392
	ds_load_b128 v[76:79], v82 offset:11008
	s_waitcnt lgkmcnt(2)
	;;#ASMSTART
	
             v_fmac_f32 v8, v64, v68 
             
	;;#ASMEND
	;;#ASMSTART
	
             v_fmac_f32 v9, v64, v69 
             
	;;#ASMEND
	;; [unrolled: 5-line block ×16, first 2 shown]
	s_waitcnt lgkmcnt(1)
	;;#ASMSTART
	
             v_fmac_f32 v28, v64, v72 
             
	;;#ASMEND
	;;#ASMSTART
	
             v_fmac_f32 v29, v64, v73 
             
	;;#ASMEND
	;;#ASMSTART
	
             v_fmac_f32 v30, v64, v74 
             
	;;#ASMEND
	;;#ASMSTART
	
             v_fmac_f32 v31, v64, v75 
             
	;;#ASMEND
	;;#ASMSTART
	
             v_fmac_f32 v24, v65, v72 
             
	;;#ASMEND
	;;#ASMSTART
	
             v_fmac_f32 v25, v65, v73 
             
	;;#ASMEND
	;;#ASMSTART
	
             v_fmac_f32 v26, v65, v74 
             
	;;#ASMEND
	;;#ASMSTART
	
             v_fmac_f32 v27, v65, v75 
             
	;;#ASMEND
	;;#ASMSTART
	
             v_fmac_f32 v36, v66, v72 
             
	;;#ASMEND
	;;#ASMSTART
	
             v_fmac_f32 v37, v66, v73 
             
	;;#ASMEND
	;;#ASMSTART
	
             v_fmac_f32 v38, v66, v74 
             
	;;#ASMEND
	;;#ASMSTART
	
             v_fmac_f32 v39, v66, v75 
             
	;;#ASMEND
	;;#ASMSTART
	
             v_fmac_f32 v32, v67, v72 
             
	;;#ASMEND
	;;#ASMSTART
	
             v_fmac_f32 v33, v67, v73 
             
	;;#ASMEND
	;;#ASMSTART
	
             v_fmac_f32 v34, v67, v74 
             
	;;#ASMEND
	;;#ASMSTART
	
             v_fmac_f32 v35, v67, v75 
             
	;;#ASMEND
	ds_load_b128 v[64:67], v82 offset:11264
	s_waitcnt lgkmcnt(1)
	;;#ASMSTART
	
             v_fmac_f32 v20, v76, v68 
             
	;;#ASMEND
	;;#ASMSTART
	
             v_fmac_f32 v21, v76, v69 
             
	;;#ASMEND
	;; [unrolled: 5-line block ×16, first 2 shown]
	ds_load_b128 v[68:71], v83 offset:27648
	;;#ASMSTART
	
             v_fmac_f32 v52, v76, v72 
             
	;;#ASMEND
	;;#ASMSTART
	
             v_fmac_f32 v53, v76, v73 
             
	;;#ASMEND
	;; [unrolled: 5-line block ×16, first 2 shown]
	ds_load_b128 v[72:75], v83 offset:27904
	ds_load_b128 v[76:79], v82 offset:11520
	s_waitcnt lgkmcnt(2)
	;;#ASMSTART
	
             v_fmac_f32 v8, v64, v68 
             
	;;#ASMEND
	;;#ASMSTART
	
             v_fmac_f32 v9, v64, v69 
             
	;;#ASMEND
	;; [unrolled: 5-line block ×16, first 2 shown]
	s_waitcnt lgkmcnt(1)
	;;#ASMSTART
	
             v_fmac_f32 v28, v64, v72 
             
	;;#ASMEND
	;;#ASMSTART
	
             v_fmac_f32 v29, v64, v73 
             
	;;#ASMEND
	;;#ASMSTART
	
             v_fmac_f32 v30, v64, v74 
             
	;;#ASMEND
	;;#ASMSTART
	
             v_fmac_f32 v31, v64, v75 
             
	;;#ASMEND
	;;#ASMSTART
	
             v_fmac_f32 v24, v65, v72 
             
	;;#ASMEND
	;;#ASMSTART
	
             v_fmac_f32 v25, v65, v73 
             
	;;#ASMEND
	;;#ASMSTART
	
             v_fmac_f32 v26, v65, v74 
             
	;;#ASMEND
	;;#ASMSTART
	
             v_fmac_f32 v27, v65, v75 
             
	;;#ASMEND
	;;#ASMSTART
	
             v_fmac_f32 v36, v66, v72 
             
	;;#ASMEND
	;;#ASMSTART
	
             v_fmac_f32 v37, v66, v73 
             
	;;#ASMEND
	;;#ASMSTART
	
             v_fmac_f32 v38, v66, v74 
             
	;;#ASMEND
	;;#ASMSTART
	
             v_fmac_f32 v39, v66, v75 
             
	;;#ASMEND
	;;#ASMSTART
	
             v_fmac_f32 v32, v67, v72 
             
	;;#ASMEND
	;;#ASMSTART
	
             v_fmac_f32 v33, v67, v73 
             
	;;#ASMEND
	;;#ASMSTART
	
             v_fmac_f32 v34, v67, v74 
             
	;;#ASMEND
	;;#ASMSTART
	
             v_fmac_f32 v35, v67, v75 
             
	;;#ASMEND
	ds_load_b128 v[64:67], v82 offset:11776
	s_waitcnt lgkmcnt(1)
	;;#ASMSTART
	
             v_fmac_f32 v20, v76, v68 
             
	;;#ASMEND
	;;#ASMSTART
	
             v_fmac_f32 v21, v76, v69 
             
	;;#ASMEND
	;;#ASMSTART
	
             v_fmac_f32 v22, v76, v70 
             
	;;#ASMEND
	;;#ASMSTART
	
             v_fmac_f32 v23, v76, v71 
             
	;;#ASMEND
	;;#ASMSTART
	
             v_fmac_f32 v40, v77, v68 
             
	;;#ASMEND
	;;#ASMSTART
	
             v_fmac_f32 v41, v77, v69 
             
	;;#ASMEND
	;;#ASMSTART
	
             v_fmac_f32 v42, v77, v70 
             
	;;#ASMEND
	;;#ASMSTART
	
             v_fmac_f32 v43, v77, v71 
             
	;;#ASMEND
	;;#ASMSTART
	
             v_fmac_f32 v44, v78, v68 
             
	;;#ASMEND
	;;#ASMSTART
	
             v_fmac_f32 v45, v78, v69 
             
	;;#ASMEND
	;;#ASMSTART
	
             v_fmac_f32 v46, v78, v70 
             
	;;#ASMEND
	;;#ASMSTART
	
             v_fmac_f32 v47, v78, v71 
             
	;;#ASMEND
	;;#ASMSTART
	
             v_fmac_f32 v48, v79, v68 
             
	;;#ASMEND
	;;#ASMSTART
	
             v_fmac_f32 v49, v79, v69 
             
	;;#ASMEND
	;;#ASMSTART
	
             v_fmac_f32 v50, v79, v70 
             
	;;#ASMEND
	;;#ASMSTART
	
             v_fmac_f32 v51, v79, v71 
             
	;;#ASMEND
	ds_load_b128 v[68:71], v83 offset:28160
	;;#ASMSTART
	
             v_fmac_f32 v52, v76, v72 
             
	;;#ASMEND
	;;#ASMSTART
	
             v_fmac_f32 v53, v76, v73 
             
	;;#ASMEND
	;; [unrolled: 5-line block ×16, first 2 shown]
	ds_load_b128 v[72:75], v83 offset:28416
	ds_load_b128 v[76:79], v82 offset:12032
	s_waitcnt lgkmcnt(2)
	;;#ASMSTART
	
             v_fmac_f32 v8, v64, v68 
             
	;;#ASMEND
	;;#ASMSTART
	
             v_fmac_f32 v9, v64, v69 
             
	;;#ASMEND
	;; [unrolled: 5-line block ×16, first 2 shown]
	s_waitcnt lgkmcnt(1)
	;;#ASMSTART
	
             v_fmac_f32 v28, v64, v72 
             
	;;#ASMEND
	;;#ASMSTART
	
             v_fmac_f32 v29, v64, v73 
             
	;;#ASMEND
	;; [unrolled: 5-line block ×16, first 2 shown]
	ds_load_b128 v[64:67], v82 offset:12288
	s_waitcnt lgkmcnt(1)
	;;#ASMSTART
	
             v_fmac_f32 v20, v76, v68 
             
	;;#ASMEND
	;;#ASMSTART
	
             v_fmac_f32 v21, v76, v69 
             
	;;#ASMEND
	;; [unrolled: 5-line block ×16, first 2 shown]
	ds_load_b128 v[68:71], v83 offset:28672
	;;#ASMSTART
	
             v_fmac_f32 v52, v76, v72 
             
	;;#ASMEND
	;;#ASMSTART
	
             v_fmac_f32 v53, v76, v73 
             
	;;#ASMEND
	;; [unrolled: 5-line block ×16, first 2 shown]
	ds_load_b128 v[72:75], v83 offset:28928
	ds_load_b128 v[76:79], v82 offset:12544
	s_waitcnt lgkmcnt(2)
	;;#ASMSTART
	
             v_fmac_f32 v8, v64, v68 
             
	;;#ASMEND
	;;#ASMSTART
	
             v_fmac_f32 v9, v64, v69 
             
	;;#ASMEND
	;; [unrolled: 5-line block ×16, first 2 shown]
	s_waitcnt lgkmcnt(1)
	;;#ASMSTART
	
             v_fmac_f32 v28, v64, v72 
             
	;;#ASMEND
	;;#ASMSTART
	
             v_fmac_f32 v29, v64, v73 
             
	;;#ASMEND
	;;#ASMSTART
	
             v_fmac_f32 v30, v64, v74 
             
	;;#ASMEND
	;;#ASMSTART
	
             v_fmac_f32 v31, v64, v75 
             
	;;#ASMEND
	;;#ASMSTART
	
             v_fmac_f32 v24, v65, v72 
             
	;;#ASMEND
	;;#ASMSTART
	
             v_fmac_f32 v25, v65, v73 
             
	;;#ASMEND
	;;#ASMSTART
	
             v_fmac_f32 v26, v65, v74 
             
	;;#ASMEND
	;;#ASMSTART
	
             v_fmac_f32 v27, v65, v75 
             
	;;#ASMEND
	;;#ASMSTART
	
             v_fmac_f32 v36, v66, v72 
             
	;;#ASMEND
	;;#ASMSTART
	
             v_fmac_f32 v37, v66, v73 
             
	;;#ASMEND
	;;#ASMSTART
	
             v_fmac_f32 v38, v66, v74 
             
	;;#ASMEND
	;;#ASMSTART
	
             v_fmac_f32 v39, v66, v75 
             
	;;#ASMEND
	;;#ASMSTART
	
             v_fmac_f32 v32, v67, v72 
             
	;;#ASMEND
	;;#ASMSTART
	
             v_fmac_f32 v33, v67, v73 
             
	;;#ASMEND
	;;#ASMSTART
	
             v_fmac_f32 v34, v67, v74 
             
	;;#ASMEND
	;;#ASMSTART
	
             v_fmac_f32 v35, v67, v75 
             
	;;#ASMEND
	ds_load_b128 v[64:67], v82 offset:12800
	s_waitcnt lgkmcnt(1)
	;;#ASMSTART
	
             v_fmac_f32 v20, v76, v68 
             
	;;#ASMEND
	;;#ASMSTART
	
             v_fmac_f32 v21, v76, v69 
             
	;;#ASMEND
	;;#ASMSTART
	
             v_fmac_f32 v22, v76, v70 
             
	;;#ASMEND
	;;#ASMSTART
	
             v_fmac_f32 v23, v76, v71 
             
	;;#ASMEND
	;;#ASMSTART
	
             v_fmac_f32 v40, v77, v68 
             
	;;#ASMEND
	;;#ASMSTART
	
             v_fmac_f32 v41, v77, v69 
             
	;;#ASMEND
	;;#ASMSTART
	
             v_fmac_f32 v42, v77, v70 
             
	;;#ASMEND
	;;#ASMSTART
	
             v_fmac_f32 v43, v77, v71 
             
	;;#ASMEND
	;;#ASMSTART
	
             v_fmac_f32 v44, v78, v68 
             
	;;#ASMEND
	;;#ASMSTART
	
             v_fmac_f32 v45, v78, v69 
             
	;;#ASMEND
	;;#ASMSTART
	
             v_fmac_f32 v46, v78, v70 
             
	;;#ASMEND
	;;#ASMSTART
	
             v_fmac_f32 v47, v78, v71 
             
	;;#ASMEND
	;;#ASMSTART
	
             v_fmac_f32 v48, v79, v68 
             
	;;#ASMEND
	;;#ASMSTART
	
             v_fmac_f32 v49, v79, v69 
             
	;;#ASMEND
	;;#ASMSTART
	
             v_fmac_f32 v50, v79, v70 
             
	;;#ASMEND
	;;#ASMSTART
	
             v_fmac_f32 v51, v79, v71 
             
	;;#ASMEND
	ds_load_b128 v[68:71], v83 offset:29184
	;;#ASMSTART
	
             v_fmac_f32 v52, v76, v72 
             
	;;#ASMEND
	;;#ASMSTART
	
             v_fmac_f32 v53, v76, v73 
             
	;;#ASMEND
	;; [unrolled: 5-line block ×16, first 2 shown]
	ds_load_b128 v[72:75], v83 offset:29440
	ds_load_b128 v[76:79], v82 offset:13056
	s_waitcnt lgkmcnt(2)
	;;#ASMSTART
	
             v_fmac_f32 v8, v64, v68 
             
	;;#ASMEND
	;;#ASMSTART
	
             v_fmac_f32 v9, v64, v69 
             
	;;#ASMEND
	;; [unrolled: 5-line block ×16, first 2 shown]
	s_waitcnt lgkmcnt(1)
	;;#ASMSTART
	
             v_fmac_f32 v28, v64, v72 
             
	;;#ASMEND
	;;#ASMSTART
	
             v_fmac_f32 v29, v64, v73 
             
	;;#ASMEND
	;; [unrolled: 5-line block ×16, first 2 shown]
	ds_load_b128 v[64:67], v82 offset:13312
	s_waitcnt lgkmcnt(1)
	;;#ASMSTART
	
             v_fmac_f32 v20, v76, v68 
             
	;;#ASMEND
	;;#ASMSTART
	
             v_fmac_f32 v21, v76, v69 
             
	;;#ASMEND
	;; [unrolled: 5-line block ×16, first 2 shown]
	ds_load_b128 v[68:71], v83 offset:29696
	;;#ASMSTART
	
             v_fmac_f32 v52, v76, v72 
             
	;;#ASMEND
	;;#ASMSTART
	
             v_fmac_f32 v53, v76, v73 
             
	;;#ASMEND
	;; [unrolled: 5-line block ×16, first 2 shown]
	ds_load_b128 v[72:75], v83 offset:29952
	ds_load_b128 v[76:79], v82 offset:13568
	s_waitcnt lgkmcnt(2)
	;;#ASMSTART
	
             v_fmac_f32 v8, v64, v68 
             
	;;#ASMEND
	;;#ASMSTART
	
             v_fmac_f32 v9, v64, v69 
             
	;;#ASMEND
	;;#ASMSTART
	
             v_fmac_f32 v10, v64, v70 
             
	;;#ASMEND
	;;#ASMSTART
	
             v_fmac_f32 v11, v64, v71 
             
	;;#ASMEND
	;;#ASMSTART
	
             v_fmac_f32 v4, v65, v68 
             
	;;#ASMEND
	;;#ASMSTART
	
             v_fmac_f32 v5, v65, v69 
             
	;;#ASMEND
	;;#ASMSTART
	
             v_fmac_f32 v6, v65, v70 
             
	;;#ASMEND
	;;#ASMSTART
	
             v_fmac_f32 v7, v65, v71 
             
	;;#ASMEND
	;;#ASMSTART
	
             v_fmac_f32 v16, v66, v68 
             
	;;#ASMEND
	;;#ASMSTART
	
             v_fmac_f32 v17, v66, v69 
             
	;;#ASMEND
	;;#ASMSTART
	
             v_fmac_f32 v18, v66, v70 
             
	;;#ASMEND
	;;#ASMSTART
	
             v_fmac_f32 v19, v66, v71 
             
	;;#ASMEND
	;;#ASMSTART
	
             v_fmac_f32 v12, v67, v68 
             
	;;#ASMEND
	;;#ASMSTART
	
             v_fmac_f32 v13, v67, v69 
             
	;;#ASMEND
	;;#ASMSTART
	
             v_fmac_f32 v14, v67, v70 
             
	;;#ASMEND
	;;#ASMSTART
	
             v_fmac_f32 v15, v67, v71 
             
	;;#ASMEND
	s_waitcnt lgkmcnt(1)
	;;#ASMSTART
	
             v_fmac_f32 v28, v64, v72 
             
	;;#ASMEND
	;;#ASMSTART
	
             v_fmac_f32 v29, v64, v73 
             
	;;#ASMEND
	;; [unrolled: 5-line block ×16, first 2 shown]
	ds_load_b128 v[64:67], v82 offset:13824
	s_waitcnt lgkmcnt(1)
	;;#ASMSTART
	
             v_fmac_f32 v20, v76, v68 
             
	;;#ASMEND
	;;#ASMSTART
	
             v_fmac_f32 v21, v76, v69 
             
	;;#ASMEND
	;; [unrolled: 5-line block ×16, first 2 shown]
	ds_load_b128 v[68:71], v83 offset:30208
	;;#ASMSTART
	
             v_fmac_f32 v52, v76, v72 
             
	;;#ASMEND
	;;#ASMSTART
	
             v_fmac_f32 v53, v76, v73 
             
	;;#ASMEND
	;; [unrolled: 5-line block ×16, first 2 shown]
	ds_load_b128 v[72:75], v83 offset:30464
	ds_load_b128 v[76:79], v82 offset:14080
	s_waitcnt lgkmcnt(2)
	;;#ASMSTART
	
             v_fmac_f32 v8, v64, v68 
             
	;;#ASMEND
	;;#ASMSTART
	
             v_fmac_f32 v9, v64, v69 
             
	;;#ASMEND
	;; [unrolled: 5-line block ×16, first 2 shown]
	s_waitcnt lgkmcnt(1)
	;;#ASMSTART
	
             v_fmac_f32 v28, v64, v72 
             
	;;#ASMEND
	;;#ASMSTART
	
             v_fmac_f32 v29, v64, v73 
             
	;;#ASMEND
	;; [unrolled: 5-line block ×16, first 2 shown]
	ds_load_b128 v[64:67], v82 offset:14336
	s_waitcnt lgkmcnt(1)
	;;#ASMSTART
	
             v_fmac_f32 v20, v76, v68 
             
	;;#ASMEND
	;;#ASMSTART
	
             v_fmac_f32 v21, v76, v69 
             
	;;#ASMEND
	;;#ASMSTART
	
             v_fmac_f32 v22, v76, v70 
             
	;;#ASMEND
	;;#ASMSTART
	
             v_fmac_f32 v23, v76, v71 
             
	;;#ASMEND
	;;#ASMSTART
	
             v_fmac_f32 v40, v77, v68 
             
	;;#ASMEND
	;;#ASMSTART
	
             v_fmac_f32 v41, v77, v69 
             
	;;#ASMEND
	;;#ASMSTART
	
             v_fmac_f32 v42, v77, v70 
             
	;;#ASMEND
	;;#ASMSTART
	
             v_fmac_f32 v43, v77, v71 
             
	;;#ASMEND
	;;#ASMSTART
	
             v_fmac_f32 v44, v78, v68 
             
	;;#ASMEND
	;;#ASMSTART
	
             v_fmac_f32 v45, v78, v69 
             
	;;#ASMEND
	;;#ASMSTART
	
             v_fmac_f32 v46, v78, v70 
             
	;;#ASMEND
	;;#ASMSTART
	
             v_fmac_f32 v47, v78, v71 
             
	;;#ASMEND
	;;#ASMSTART
	
             v_fmac_f32 v48, v79, v68 
             
	;;#ASMEND
	;;#ASMSTART
	
             v_fmac_f32 v49, v79, v69 
             
	;;#ASMEND
	;;#ASMSTART
	
             v_fmac_f32 v50, v79, v70 
             
	;;#ASMEND
	;;#ASMSTART
	
             v_fmac_f32 v51, v79, v71 
             
	;;#ASMEND
	ds_load_b128 v[68:71], v83 offset:30720
	;;#ASMSTART
	
             v_fmac_f32 v52, v76, v72 
             
	;;#ASMEND
	;;#ASMSTART
	
             v_fmac_f32 v53, v76, v73 
             
	;;#ASMEND
	;;#ASMSTART
	
             v_fmac_f32 v54, v76, v74 
             
	;;#ASMEND
	;;#ASMSTART
	
             v_fmac_f32 v55, v76, v75 
             
	;;#ASMEND
	;;#ASMSTART
	
             v_fmac_f32 v56, v77, v72 
             
	;;#ASMEND
	;;#ASMSTART
	
             v_fmac_f32 v57, v77, v73 
             
	;;#ASMEND
	;;#ASMSTART
	
             v_fmac_f32 v58, v77, v74 
             
	;;#ASMEND
	;;#ASMSTART
	
             v_fmac_f32 v59, v77, v75 
             
	;;#ASMEND
	;;#ASMSTART
	
             v_fmac_f32 v60, v78, v72 
             
	;;#ASMEND
	;;#ASMSTART
	
             v_fmac_f32 v61, v78, v73 
             
	;;#ASMEND
	;;#ASMSTART
	
             v_fmac_f32 v62, v78, v74 
             
	;;#ASMEND
	;;#ASMSTART
	
             v_fmac_f32 v63, v78, v75 
             
	;;#ASMEND
	;;#ASMSTART
	
             v_fmac_f32 v0, v79, v72 
             
	;;#ASMEND
	;;#ASMSTART
	
             v_fmac_f32 v1, v79, v73 
             
	;;#ASMEND
	;;#ASMSTART
	
             v_fmac_f32 v2, v79, v74 
             
	;;#ASMEND
	;;#ASMSTART
	
             v_fmac_f32 v3, v79, v75 
             
	;;#ASMEND
	ds_load_b128 v[72:75], v83 offset:30976
	ds_load_b128 v[76:79], v82 offset:14592
	s_waitcnt lgkmcnt(2)
	;;#ASMSTART
	
             v_fmac_f32 v8, v64, v68 
             
	;;#ASMEND
	;;#ASMSTART
	
             v_fmac_f32 v9, v64, v69 
             
	;;#ASMEND
	;; [unrolled: 5-line block ×16, first 2 shown]
	s_waitcnt lgkmcnt(1)
	;;#ASMSTART
	
             v_fmac_f32 v28, v64, v72 
             
	;;#ASMEND
	;;#ASMSTART
	
             v_fmac_f32 v29, v64, v73 
             
	;;#ASMEND
	;; [unrolled: 5-line block ×16, first 2 shown]
	ds_load_b128 v[64:67], v82 offset:14848
	s_waitcnt lgkmcnt(1)
	;;#ASMSTART
	
             v_fmac_f32 v20, v76, v68 
             
	;;#ASMEND
	;;#ASMSTART
	
             v_fmac_f32 v21, v76, v69 
             
	;;#ASMEND
	;; [unrolled: 5-line block ×16, first 2 shown]
	ds_load_b128 v[68:71], v83 offset:31232
	;;#ASMSTART
	
             v_fmac_f32 v52, v76, v72 
             
	;;#ASMEND
	;;#ASMSTART
	
             v_fmac_f32 v53, v76, v73 
             
	;;#ASMEND
	;; [unrolled: 5-line block ×16, first 2 shown]
	ds_load_b128 v[72:75], v83 offset:31488
	ds_load_b128 v[76:79], v82 offset:15104
	s_waitcnt lgkmcnt(2)
	;;#ASMSTART
	
             v_fmac_f32 v8, v64, v68 
             
	;;#ASMEND
	;;#ASMSTART
	
             v_fmac_f32 v9, v64, v69 
             
	;;#ASMEND
	;; [unrolled: 5-line block ×16, first 2 shown]
	s_waitcnt lgkmcnt(1)
	;;#ASMSTART
	
             v_fmac_f32 v28, v64, v72 
             
	;;#ASMEND
	;;#ASMSTART
	
             v_fmac_f32 v29, v64, v73 
             
	;;#ASMEND
	;; [unrolled: 5-line block ×16, first 2 shown]
	ds_load_b128 v[64:67], v82 offset:15360
	s_waitcnt lgkmcnt(1)
	;;#ASMSTART
	
             v_fmac_f32 v20, v76, v68 
             
	;;#ASMEND
	;;#ASMSTART
	
             v_fmac_f32 v21, v76, v69 
             
	;;#ASMEND
	;; [unrolled: 5-line block ×16, first 2 shown]
	ds_load_b128 v[68:71], v83 offset:31744
	;;#ASMSTART
	
             v_fmac_f32 v52, v76, v72 
             
	;;#ASMEND
	;;#ASMSTART
	
             v_fmac_f32 v53, v76, v73 
             
	;;#ASMEND
	;; [unrolled: 5-line block ×16, first 2 shown]
	ds_load_b128 v[72:75], v83 offset:32000
	ds_load_b128 v[76:79], v82 offset:15616
	s_waitcnt lgkmcnt(2)
	;;#ASMSTART
	
             v_fmac_f32 v8, v64, v68 
             
	;;#ASMEND
	;;#ASMSTART
	
             v_fmac_f32 v9, v64, v69 
             
	;;#ASMEND
	;;#ASMSTART
	
             v_fmac_f32 v10, v64, v70 
             
	;;#ASMEND
	;;#ASMSTART
	
             v_fmac_f32 v11, v64, v71 
             
	;;#ASMEND
	;;#ASMSTART
	
             v_fmac_f32 v4, v65, v68 
             
	;;#ASMEND
	;;#ASMSTART
	
             v_fmac_f32 v5, v65, v69 
             
	;;#ASMEND
	;;#ASMSTART
	
             v_fmac_f32 v6, v65, v70 
             
	;;#ASMEND
	;;#ASMSTART
	
             v_fmac_f32 v7, v65, v71 
             
	;;#ASMEND
	;;#ASMSTART
	
             v_fmac_f32 v16, v66, v68 
             
	;;#ASMEND
	;;#ASMSTART
	
             v_fmac_f32 v17, v66, v69 
             
	;;#ASMEND
	;;#ASMSTART
	
             v_fmac_f32 v18, v66, v70 
             
	;;#ASMEND
	;;#ASMSTART
	
             v_fmac_f32 v19, v66, v71 
             
	;;#ASMEND
	;;#ASMSTART
	
             v_fmac_f32 v12, v67, v68 
             
	;;#ASMEND
	;;#ASMSTART
	
             v_fmac_f32 v13, v67, v69 
             
	;;#ASMEND
	;;#ASMSTART
	
             v_fmac_f32 v14, v67, v70 
             
	;;#ASMEND
	;;#ASMSTART
	
             v_fmac_f32 v15, v67, v71 
             
	;;#ASMEND
	s_waitcnt lgkmcnt(1)
	;;#ASMSTART
	
             v_fmac_f32 v28, v64, v72 
             
	;;#ASMEND
	;;#ASMSTART
	
             v_fmac_f32 v29, v64, v73 
             
	;;#ASMEND
	;; [unrolled: 5-line block ×16, first 2 shown]
	ds_load_b128 v[64:67], v82 offset:15872
	s_waitcnt lgkmcnt(1)
	;;#ASMSTART
	
             v_fmac_f32 v20, v76, v68 
             
	;;#ASMEND
	;;#ASMSTART
	
             v_fmac_f32 v21, v76, v69 
             
	;;#ASMEND
	;; [unrolled: 5-line block ×16, first 2 shown]
	ds_load_b128 v[68:71], v83 offset:32256
	;;#ASMSTART
	
             v_fmac_f32 v52, v76, v72 
             
	;;#ASMEND
	;;#ASMSTART
	
             v_fmac_f32 v53, v76, v73 
             
	;;#ASMEND
	;; [unrolled: 5-line block ×16, first 2 shown]
	ds_load_b128 v[72:75], v83 offset:32512
	ds_load_b128 v[76:79], v82 offset:16128
	s_waitcnt lgkmcnt(2)
	;;#ASMSTART
	
             v_fmac_f32 v8, v64, v68 
             
	;;#ASMEND
	;;#ASMSTART
	
             v_fmac_f32 v9, v64, v69 
             
	;;#ASMEND
	;; [unrolled: 5-line block ×16, first 2 shown]
	s_waitcnt lgkmcnt(1)
	;;#ASMSTART
	
             v_fmac_f32 v28, v64, v72 
             
	;;#ASMEND
	;;#ASMSTART
	
             v_fmac_f32 v29, v64, v73 
             
	;;#ASMEND
	;; [unrolled: 5-line block ×4, first 2 shown]
	v_add_nc_u32_e32 v64, s13, v81
	;;#ASMSTART
	
             v_fmac_f32 v24, v65, v72 
             
	;;#ASMEND
	;;#ASMSTART
	
             v_fmac_f32 v25, v65, v73 
             
	;;#ASMEND
	;; [unrolled: 5-line block ×4, first 2 shown]
	v_mul_lo_u32 v64, v64, s12
	;;#ASMSTART
	
             v_fmac_f32 v36, v66, v72 
             
	;;#ASMEND
	;;#ASMSTART
	
             v_fmac_f32 v37, v66, v73 
             
	;;#ASMEND
	;; [unrolled: 5-line block ×7, first 2 shown]
	v_add3_u32 v64, s3, v80, v64
	;;#ASMSTART
	
             v_fmac_f32 v35, v67, v75 
             
	;;#ASMEND
	s_waitcnt lgkmcnt(0)
	;;#ASMSTART
	
             v_fmac_f32 v20, v76, v68 
             
	;;#ASMEND
	;;#ASMSTART
	
             v_fmac_f32 v21, v76, v69 
             
	;;#ASMEND
	;;#ASMSTART
	
             v_fmac_f32 v22, v76, v70 
             
	;;#ASMEND
	v_add_nc_u32_e32 v65, s12, v64
	;;#ASMSTART
	
             v_fmac_f32 v23, v76, v71 
             
	;;#ASMEND
	;;#ASMSTART
	
             v_fmac_f32 v40, v77, v68 
             
	;;#ASMEND
	;;#ASMSTART
	
             v_fmac_f32 v41, v77, v69 
             
	;;#ASMEND
	;;#ASMSTART
	
             v_fmac_f32 v42, v77, v70 
             
	;;#ASMEND
	v_add_nc_u32_e32 v66, s12, v65
	;;#ASMSTART
	
             v_fmac_f32 v43, v77, v71 
             
	;;#ASMEND
	;; [unrolled: 21-line block ×3, first 2 shown]
	;;#ASMSTART
	
             v_fmac_f32 v48, v79, v68 
             
	;;#ASMEND
	;;#ASMSTART
	
             v_fmac_f32 v49, v79, v69 
             
	;;#ASMEND
	;; [unrolled: 5-line block ×3, first 2 shown]
	v_lshl_add_u32 v68, s12, 6, v67
	v_add_nc_u32_e32 v69, 64, v64
	;;#ASMSTART
	
             v_fmac_f32 v51, v79, v71 
             
	;;#ASMEND
	;;#ASMSTART
	
             v_fmac_f32 v52, v76, v72 
             
	;;#ASMEND
	;; [unrolled: 5-line block ×3, first 2 shown]
	v_add_nc_u32_e32 v70, 64, v68
	;;#ASMSTART
	
             v_fmac_f32 v54, v76, v74 
             
	;;#ASMEND
	;;#ASMSTART
	
             v_fmac_f32 v55, v76, v75 
             
	;;#ASMEND
	;; [unrolled: 5-line block ×11, first 2 shown]
	v_lshlrev_b32_e32 v64, 2, v64
	v_subrev_nc_u32_e32 v72, s12, v70
	v_lshlrev_b32_e32 v71, 2, v69
	s_mov_b32 s3, s7
	;;#ASMSTART
	
             v_fmac_f32 v1, v79, v73 
             
	;;#ASMEND
	;;#ASMSTART
	
             v_fmac_f32 v2, v79, v74 
             
	;;#ASMEND
	;;#ASMSTART
	
             v_fmac_f32 v3, v79, v75 
             
	;;#ASMEND
	s_clause 0x1
	buffer_store_b128 v[8:11], v64, s[0:3], 0 offen
	buffer_store_b128 v[28:31], v71, s[0:3], 0 offen
	v_add_lshl_u32 v9, v69, s12, 2
	v_subrev_nc_u32_e32 v10, 64, v72
	v_add_nc_u32_e32 v8, 64, v66
	v_lshlrev_b32_e32 v11, 2, v65
	v_lshlrev_b32_e32 v28, 2, v66
	buffer_store_b128 v[24:27], v9, s[0:3], 0 offen
	v_subrev_nc_u32_e32 v9, s12, v10
	v_lshlrev_b32_e32 v29, 2, v8
	s_clause 0x2
	buffer_store_b128 v[4:7], v11, s[0:3], 0 offen
	buffer_store_b128 v[16:19], v28, s[0:3], 0 offen
	buffer_store_b128 v[36:39], v29, s[0:3], 0 offen
	v_add_lshl_u32 v4, v8, s12, 2
	v_add_nc_u32_e32 v5, 64, v9
	v_lshlrev_b32_e32 v6, 2, v67
	v_lshlrev_b32_e32 v7, 2, v68
	;; [unrolled: 1-line block ×3, first 2 shown]
	buffer_store_b128 v[32:35], v4, s[0:3], 0 offen
	v_subrev_nc_u32_e32 v4, s12, v5
	s_clause 0x2
	buffer_store_b128 v[12:15], v6, s[0:3], 0 offen
	buffer_store_b128 v[48:51], v7, s[0:3], 0 offen
	;; [unrolled: 1-line block ×3, first 2 shown]
	v_lshlrev_b32_e32 v0, 2, v72
	v_lshlrev_b32_e32 v2, 2, v10
	;; [unrolled: 1-line block ×5, first 2 shown]
	buffer_store_b128 v[60:63], v0, s[0:3], 0 offen
	v_add_nc_u32_e32 v0, 0xffffff00, v1
	s_clause 0x4
	buffer_store_b128 v[44:47], v2, s[0:3], 0 offen
	buffer_store_b128 v[40:43], v3, s[0:3], 0 offen
	buffer_store_b128 v[56:59], v4, s[0:3], 0 offen
	buffer_store_b128 v[52:55], v1, s[0:3], 0 offen
	buffer_store_b128 v[20:23], v0, s[0:3], 0 offen
	s_nop 0
	s_sendmsg sendmsg(MSG_DEALLOC_VGPRS)
	s_endpgm
	.section	.rodata,"a",@progbits
	.p2align	6, 0x0
	.amdhsa_kernel _ZN2ck19kernel_gemm_dl_v1r3INS_28GridwiseGemmDl_km_kn_mn_v1r3ILi256EfffLNS_25InMemoryDataOperationEnumE0ENS_16TensorDescriptorINS_5TupleIJNS_5EmbedINS4_IJiiEEENS4_IJNS_17integral_constantIiLi1EEEiEEELb0EEENS_7UnMergeINS4_IJiS8_EEELb0EEENS_11PassThroughIiEEEEENS4_IJNS_8SequenceIJLi0EEEENSH_IJLi2EEEENSH_IJLi1EEEEEEENS4_IJNSH_IJLi1ELi2EEEENSH_IJLi3ELi4EEEENSH_IJLi5EEEEEEENSH_IJLi3ELi5ELi4EEEElEENS3_INS4_IJNS5_IS6_SC_Lb0EEESD_SF_EEENS4_IJSI_SK_SJ_EEESP_SQ_lEENS3_INS4_IJSS_SF_SF_EEESU_NS4_IJSM_NSH_IJLi3EEEENSH_IJLi4EEEEEEESN_lEELi128ELi128ELi16ELi1ELi4ELi4ELi1ENSH_IJLi8ELi2EEEES11_NSH_IJLi2ELi1ELi4ELi1EEEENSH_IJLi8ELi1ELi32ELi1EEEENSH_IJLi0ELi3ELi1ELi2EEEES14_NSH_IJLi1ELi1ELi4ELi1EEEES14_S15_S12_S13_S14_S14_S15_S14_S15_NSH_IJLi0ELi1ELi2ELi3ELi4ELi5EEEELi5ELi4EEEffNS3_INS4_IJSA_SD_SF_SF_NSB_INS4_IJiNS7_IiLi128EEEEEELb0EEENSE_IS8_EEEEENS4_IJSI_SJ_SK_SX_SO_SY_EEENS4_IJSM_SN_SO_NSH_IJLi6EEEENSH_IJLi7ELi8EEEENSH_IJLi9EEEEEEENSH_IJLi6ELi7ELi8ELi9EEEElEENS3_INS4_IJSS_SD_SF_SF_S1A_S1B_EEENS4_IJSI_SK_SJ_SX_SO_SY_EEES1H_S1I_lEENS3_INS4_IJSS_SF_SF_NSB_INS4_IJiNS7_IiLi2EEENS7_IiLi64EEEEEELb0EEES1Q_EEENS4_IJSI_SK_SJ_SX_SY_EEENS4_IJSM_SX_SY_NSH_IJLi5ELi6ELi7EEEENSH_IJLi8ELi9ELi10EEEEEEENSH_IJLi5ELi6ELi7ELi8ELi9ELi10EEEElEENS_31BlockToCTileMap_M00_N00_M01_N01ILi128ELi128ES10_Lb0EEELb0ELb1EEEvPKT0_S22_PT1_T2_T3_T4_T5_
		.amdhsa_group_segment_fixed_size 32768
		.amdhsa_private_segment_fixed_size 0
		.amdhsa_kernarg_size 328
		.amdhsa_user_sgpr_count 15
		.amdhsa_user_sgpr_dispatch_ptr 0
		.amdhsa_user_sgpr_queue_ptr 0
		.amdhsa_user_sgpr_kernarg_segment_ptr 1
		.amdhsa_user_sgpr_dispatch_id 0
		.amdhsa_user_sgpr_private_segment_size 0
		.amdhsa_wavefront_size32 1
		.amdhsa_uses_dynamic_stack 0
		.amdhsa_enable_private_segment 0
		.amdhsa_system_sgpr_workgroup_id_x 1
		.amdhsa_system_sgpr_workgroup_id_y 0
		.amdhsa_system_sgpr_workgroup_id_z 0
		.amdhsa_system_sgpr_workgroup_info 0
		.amdhsa_system_vgpr_workitem_id 0
		.amdhsa_next_free_vgpr 101
		.amdhsa_next_free_sgpr 24
		.amdhsa_reserve_vcc 0
		.amdhsa_float_round_mode_32 0
		.amdhsa_float_round_mode_16_64 0
		.amdhsa_float_denorm_mode_32 3
		.amdhsa_float_denorm_mode_16_64 3
		.amdhsa_dx10_clamp 1
		.amdhsa_ieee_mode 1
		.amdhsa_fp16_overflow 0
		.amdhsa_workgroup_processor_mode 1
		.amdhsa_memory_ordered 1
		.amdhsa_forward_progress 0
		.amdhsa_shared_vgpr_count 0
		.amdhsa_exception_fp_ieee_invalid_op 0
		.amdhsa_exception_fp_denorm_src 0
		.amdhsa_exception_fp_ieee_div_zero 0
		.amdhsa_exception_fp_ieee_overflow 0
		.amdhsa_exception_fp_ieee_underflow 0
		.amdhsa_exception_fp_ieee_inexact 0
		.amdhsa_exception_int_div_zero 0
	.end_amdhsa_kernel
	.section	.text._ZN2ck19kernel_gemm_dl_v1r3INS_28GridwiseGemmDl_km_kn_mn_v1r3ILi256EfffLNS_25InMemoryDataOperationEnumE0ENS_16TensorDescriptorINS_5TupleIJNS_5EmbedINS4_IJiiEEENS4_IJNS_17integral_constantIiLi1EEEiEEELb0EEENS_7UnMergeINS4_IJiS8_EEELb0EEENS_11PassThroughIiEEEEENS4_IJNS_8SequenceIJLi0EEEENSH_IJLi2EEEENSH_IJLi1EEEEEEENS4_IJNSH_IJLi1ELi2EEEENSH_IJLi3ELi4EEEENSH_IJLi5EEEEEEENSH_IJLi3ELi5ELi4EEEElEENS3_INS4_IJNS5_IS6_SC_Lb0EEESD_SF_EEENS4_IJSI_SK_SJ_EEESP_SQ_lEENS3_INS4_IJSS_SF_SF_EEESU_NS4_IJSM_NSH_IJLi3EEEENSH_IJLi4EEEEEEESN_lEELi128ELi128ELi16ELi1ELi4ELi4ELi1ENSH_IJLi8ELi2EEEES11_NSH_IJLi2ELi1ELi4ELi1EEEENSH_IJLi8ELi1ELi32ELi1EEEENSH_IJLi0ELi3ELi1ELi2EEEES14_NSH_IJLi1ELi1ELi4ELi1EEEES14_S15_S12_S13_S14_S14_S15_S14_S15_NSH_IJLi0ELi1ELi2ELi3ELi4ELi5EEEELi5ELi4EEEffNS3_INS4_IJSA_SD_SF_SF_NSB_INS4_IJiNS7_IiLi128EEEEEELb0EEENSE_IS8_EEEEENS4_IJSI_SJ_SK_SX_SO_SY_EEENS4_IJSM_SN_SO_NSH_IJLi6EEEENSH_IJLi7ELi8EEEENSH_IJLi9EEEEEEENSH_IJLi6ELi7ELi8ELi9EEEElEENS3_INS4_IJSS_SD_SF_SF_S1A_S1B_EEENS4_IJSI_SK_SJ_SX_SO_SY_EEES1H_S1I_lEENS3_INS4_IJSS_SF_SF_NSB_INS4_IJiNS7_IiLi2EEENS7_IiLi64EEEEEELb0EEES1Q_EEENS4_IJSI_SK_SJ_SX_SY_EEENS4_IJSM_SX_SY_NSH_IJLi5ELi6ELi7EEEENSH_IJLi8ELi9ELi10EEEEEEENSH_IJLi5ELi6ELi7ELi8ELi9ELi10EEEElEENS_31BlockToCTileMap_M00_N00_M01_N01ILi128ELi128ES10_Lb0EEELb0ELb1EEEvPKT0_S22_PT1_T2_T3_T4_T5_,"axG",@progbits,_ZN2ck19kernel_gemm_dl_v1r3INS_28GridwiseGemmDl_km_kn_mn_v1r3ILi256EfffLNS_25InMemoryDataOperationEnumE0ENS_16TensorDescriptorINS_5TupleIJNS_5EmbedINS4_IJiiEEENS4_IJNS_17integral_constantIiLi1EEEiEEELb0EEENS_7UnMergeINS4_IJiS8_EEELb0EEENS_11PassThroughIiEEEEENS4_IJNS_8SequenceIJLi0EEEENSH_IJLi2EEEENSH_IJLi1EEEEEEENS4_IJNSH_IJLi1ELi2EEEENSH_IJLi3ELi4EEEENSH_IJLi5EEEEEEENSH_IJLi3ELi5ELi4EEEElEENS3_INS4_IJNS5_IS6_SC_Lb0EEESD_SF_EEENS4_IJSI_SK_SJ_EEESP_SQ_lEENS3_INS4_IJSS_SF_SF_EEESU_NS4_IJSM_NSH_IJLi3EEEENSH_IJLi4EEEEEEESN_lEELi128ELi128ELi16ELi1ELi4ELi4ELi1ENSH_IJLi8ELi2EEEES11_NSH_IJLi2ELi1ELi4ELi1EEEENSH_IJLi8ELi1ELi32ELi1EEEENSH_IJLi0ELi3ELi1ELi2EEEES14_NSH_IJLi1ELi1ELi4ELi1EEEES14_S15_S12_S13_S14_S14_S15_S14_S15_NSH_IJLi0ELi1ELi2ELi3ELi4ELi5EEEELi5ELi4EEEffNS3_INS4_IJSA_SD_SF_SF_NSB_INS4_IJiNS7_IiLi128EEEEEELb0EEENSE_IS8_EEEEENS4_IJSI_SJ_SK_SX_SO_SY_EEENS4_IJSM_SN_SO_NSH_IJLi6EEEENSH_IJLi7ELi8EEEENSH_IJLi9EEEEEEENSH_IJLi6ELi7ELi8ELi9EEEElEENS3_INS4_IJSS_SD_SF_SF_S1A_S1B_EEENS4_IJSI_SK_SJ_SX_SO_SY_EEES1H_S1I_lEENS3_INS4_IJSS_SF_SF_NSB_INS4_IJiNS7_IiLi2EEENS7_IiLi64EEEEEELb0EEES1Q_EEENS4_IJSI_SK_SJ_SX_SY_EEENS4_IJSM_SX_SY_NSH_IJLi5ELi6ELi7EEEENSH_IJLi8ELi9ELi10EEEEEEENSH_IJLi5ELi6ELi7ELi8ELi9ELi10EEEElEENS_31BlockToCTileMap_M00_N00_M01_N01ILi128ELi128ES10_Lb0EEELb0ELb1EEEvPKT0_S22_PT1_T2_T3_T4_T5_,comdat
.Lfunc_end5:
	.size	_ZN2ck19kernel_gemm_dl_v1r3INS_28GridwiseGemmDl_km_kn_mn_v1r3ILi256EfffLNS_25InMemoryDataOperationEnumE0ENS_16TensorDescriptorINS_5TupleIJNS_5EmbedINS4_IJiiEEENS4_IJNS_17integral_constantIiLi1EEEiEEELb0EEENS_7UnMergeINS4_IJiS8_EEELb0EEENS_11PassThroughIiEEEEENS4_IJNS_8SequenceIJLi0EEEENSH_IJLi2EEEENSH_IJLi1EEEEEEENS4_IJNSH_IJLi1ELi2EEEENSH_IJLi3ELi4EEEENSH_IJLi5EEEEEEENSH_IJLi3ELi5ELi4EEEElEENS3_INS4_IJNS5_IS6_SC_Lb0EEESD_SF_EEENS4_IJSI_SK_SJ_EEESP_SQ_lEENS3_INS4_IJSS_SF_SF_EEESU_NS4_IJSM_NSH_IJLi3EEEENSH_IJLi4EEEEEEESN_lEELi128ELi128ELi16ELi1ELi4ELi4ELi1ENSH_IJLi8ELi2EEEES11_NSH_IJLi2ELi1ELi4ELi1EEEENSH_IJLi8ELi1ELi32ELi1EEEENSH_IJLi0ELi3ELi1ELi2EEEES14_NSH_IJLi1ELi1ELi4ELi1EEEES14_S15_S12_S13_S14_S14_S15_S14_S15_NSH_IJLi0ELi1ELi2ELi3ELi4ELi5EEEELi5ELi4EEEffNS3_INS4_IJSA_SD_SF_SF_NSB_INS4_IJiNS7_IiLi128EEEEEELb0EEENSE_IS8_EEEEENS4_IJSI_SJ_SK_SX_SO_SY_EEENS4_IJSM_SN_SO_NSH_IJLi6EEEENSH_IJLi7ELi8EEEENSH_IJLi9EEEEEEENSH_IJLi6ELi7ELi8ELi9EEEElEENS3_INS4_IJSS_SD_SF_SF_S1A_S1B_EEENS4_IJSI_SK_SJ_SX_SO_SY_EEES1H_S1I_lEENS3_INS4_IJSS_SF_SF_NSB_INS4_IJiNS7_IiLi2EEENS7_IiLi64EEEEEELb0EEES1Q_EEENS4_IJSI_SK_SJ_SX_SY_EEENS4_IJSM_SX_SY_NSH_IJLi5ELi6ELi7EEEENSH_IJLi8ELi9ELi10EEEEEEENSH_IJLi5ELi6ELi7ELi8ELi9ELi10EEEElEENS_31BlockToCTileMap_M00_N00_M01_N01ILi128ELi128ES10_Lb0EEELb0ELb1EEEvPKT0_S22_PT1_T2_T3_T4_T5_, .Lfunc_end5-_ZN2ck19kernel_gemm_dl_v1r3INS_28GridwiseGemmDl_km_kn_mn_v1r3ILi256EfffLNS_25InMemoryDataOperationEnumE0ENS_16TensorDescriptorINS_5TupleIJNS_5EmbedINS4_IJiiEEENS4_IJNS_17integral_constantIiLi1EEEiEEELb0EEENS_7UnMergeINS4_IJiS8_EEELb0EEENS_11PassThroughIiEEEEENS4_IJNS_8SequenceIJLi0EEEENSH_IJLi2EEEENSH_IJLi1EEEEEEENS4_IJNSH_IJLi1ELi2EEEENSH_IJLi3ELi4EEEENSH_IJLi5EEEEEEENSH_IJLi3ELi5ELi4EEEElEENS3_INS4_IJNS5_IS6_SC_Lb0EEESD_SF_EEENS4_IJSI_SK_SJ_EEESP_SQ_lEENS3_INS4_IJSS_SF_SF_EEESU_NS4_IJSM_NSH_IJLi3EEEENSH_IJLi4EEEEEEESN_lEELi128ELi128ELi16ELi1ELi4ELi4ELi1ENSH_IJLi8ELi2EEEES11_NSH_IJLi2ELi1ELi4ELi1EEEENSH_IJLi8ELi1ELi32ELi1EEEENSH_IJLi0ELi3ELi1ELi2EEEES14_NSH_IJLi1ELi1ELi4ELi1EEEES14_S15_S12_S13_S14_S14_S15_S14_S15_NSH_IJLi0ELi1ELi2ELi3ELi4ELi5EEEELi5ELi4EEEffNS3_INS4_IJSA_SD_SF_SF_NSB_INS4_IJiNS7_IiLi128EEEEEELb0EEENSE_IS8_EEEEENS4_IJSI_SJ_SK_SX_SO_SY_EEENS4_IJSM_SN_SO_NSH_IJLi6EEEENSH_IJLi7ELi8EEEENSH_IJLi9EEEEEEENSH_IJLi6ELi7ELi8ELi9EEEElEENS3_INS4_IJSS_SD_SF_SF_S1A_S1B_EEENS4_IJSI_SK_SJ_SX_SO_SY_EEES1H_S1I_lEENS3_INS4_IJSS_SF_SF_NSB_INS4_IJiNS7_IiLi2EEENS7_IiLi64EEEEEELb0EEES1Q_EEENS4_IJSI_SK_SJ_SX_SY_EEENS4_IJSM_SX_SY_NSH_IJLi5ELi6ELi7EEEENSH_IJLi8ELi9ELi10EEEEEEENSH_IJLi5ELi6ELi7ELi8ELi9ELi10EEEElEENS_31BlockToCTileMap_M00_N00_M01_N01ILi128ELi128ES10_Lb0EEELb0ELb1EEEvPKT0_S22_PT1_T2_T3_T4_T5_
                                        ; -- End function
	.section	.AMDGPU.csdata,"",@progbits
; Kernel info:
; codeLenInByte = 43604
; NumSgprs: 24
; NumVgprs: 101
; ScratchSize: 0
; MemoryBound: 0
; FloatMode: 240
; IeeeMode: 1
; LDSByteSize: 32768 bytes/workgroup (compile time only)
; SGPRBlocks: 2
; VGPRBlocks: 12
; NumSGPRsForWavesPerEU: 24
; NumVGPRsForWavesPerEU: 101
; Occupancy: 8
; WaveLimiterHint : 0
; COMPUTE_PGM_RSRC2:SCRATCH_EN: 0
; COMPUTE_PGM_RSRC2:USER_SGPR: 15
; COMPUTE_PGM_RSRC2:TRAP_HANDLER: 0
; COMPUTE_PGM_RSRC2:TGID_X_EN: 1
; COMPUTE_PGM_RSRC2:TGID_Y_EN: 0
; COMPUTE_PGM_RSRC2:TGID_Z_EN: 0
; COMPUTE_PGM_RSRC2:TIDIG_COMP_CNT: 0
	.section	.text._ZN2ck19kernel_gemm_dl_v1r3INS_28GridwiseGemmDl_km_kn_mn_v1r3ILi256EfffLNS_25InMemoryDataOperationEnumE0ENS_16TensorDescriptorINS_5TupleIJNS_5EmbedINS4_IJiiEEENS4_IJNS_17integral_constantIiLi1EEEiEEELb0EEENS_7UnMergeINS4_IJiS8_EEELb0EEENS_11PassThroughIiEEEEENS4_IJNS_8SequenceIJLi0EEEENSH_IJLi2EEEENSH_IJLi1EEEEEEENS4_IJNSH_IJLi1ELi2EEEENSH_IJLi3ELi4EEEENSH_IJLi5EEEEEEENSH_IJLi3ELi5ELi4EEEElEENS3_INS4_IJNS5_IS6_SC_Lb0EEESD_SF_EEENS4_IJSI_SK_SJ_EEESP_SQ_lEENS3_INS4_IJSS_SF_SF_EEESU_NS4_IJSM_NSH_IJLi3EEEENSH_IJLi4EEEEEEESN_lEELi128ELi128ELi16ELi1ELi4ELi4ELi1ENSH_IJLi8ELi2EEEES11_NSH_IJLi2ELi1ELi4ELi1EEEENSH_IJLi8ELi1ELi32ELi1EEEENSH_IJLi0ELi3ELi1ELi2EEEES14_NSH_IJLi1ELi1ELi4ELi1EEEES14_S15_S12_S13_S14_S14_S15_S14_S15_NSH_IJLi0ELi1ELi2ELi3ELi4ELi5EEEELi5ELi4EEEffNS3_INS4_IJSA_SD_SF_SF_NSB_INS4_IJiNS7_IiLi128EEEEEELb0EEENSE_IS8_EEEEENS4_IJSI_SJ_SK_SX_SO_SY_EEENS4_IJSM_SN_SO_NSH_IJLi6EEEENSH_IJLi7ELi8EEEENSH_IJLi9EEEEEEENSH_IJLi6ELi7ELi8ELi9EEEElEENS3_INS4_IJSS_SD_SF_SF_S1A_S1B_EEENS4_IJSI_SK_SJ_SX_SO_SY_EEES1H_S1I_lEENS3_INS4_IJSS_SF_SF_NSB_INS4_IJiNS7_IiLi2EEENS7_IiLi64EEEEEELb0EEES1Q_EEENS4_IJSI_SK_SJ_SX_SY_EEENS4_IJSM_SX_SY_NSH_IJLi5ELi6ELi7EEEENSH_IJLi8ELi9ELi10EEEEEEENSH_IJLi5ELi6ELi7ELi8ELi9ELi10EEEElEENS_31BlockToCTileMap_M00_N00_M01_N01ILi128ELi128ES10_Lb0EEELb0ELb0EEEvPKT0_S22_PT1_T2_T3_T4_T5_,"axG",@progbits,_ZN2ck19kernel_gemm_dl_v1r3INS_28GridwiseGemmDl_km_kn_mn_v1r3ILi256EfffLNS_25InMemoryDataOperationEnumE0ENS_16TensorDescriptorINS_5TupleIJNS_5EmbedINS4_IJiiEEENS4_IJNS_17integral_constantIiLi1EEEiEEELb0EEENS_7UnMergeINS4_IJiS8_EEELb0EEENS_11PassThroughIiEEEEENS4_IJNS_8SequenceIJLi0EEEENSH_IJLi2EEEENSH_IJLi1EEEEEEENS4_IJNSH_IJLi1ELi2EEEENSH_IJLi3ELi4EEEENSH_IJLi5EEEEEEENSH_IJLi3ELi5ELi4EEEElEENS3_INS4_IJNS5_IS6_SC_Lb0EEESD_SF_EEENS4_IJSI_SK_SJ_EEESP_SQ_lEENS3_INS4_IJSS_SF_SF_EEESU_NS4_IJSM_NSH_IJLi3EEEENSH_IJLi4EEEEEEESN_lEELi128ELi128ELi16ELi1ELi4ELi4ELi1ENSH_IJLi8ELi2EEEES11_NSH_IJLi2ELi1ELi4ELi1EEEENSH_IJLi8ELi1ELi32ELi1EEEENSH_IJLi0ELi3ELi1ELi2EEEES14_NSH_IJLi1ELi1ELi4ELi1EEEES14_S15_S12_S13_S14_S14_S15_S14_S15_NSH_IJLi0ELi1ELi2ELi3ELi4ELi5EEEELi5ELi4EEEffNS3_INS4_IJSA_SD_SF_SF_NSB_INS4_IJiNS7_IiLi128EEEEEELb0EEENSE_IS8_EEEEENS4_IJSI_SJ_SK_SX_SO_SY_EEENS4_IJSM_SN_SO_NSH_IJLi6EEEENSH_IJLi7ELi8EEEENSH_IJLi9EEEEEEENSH_IJLi6ELi7ELi8ELi9EEEElEENS3_INS4_IJSS_SD_SF_SF_S1A_S1B_EEENS4_IJSI_SK_SJ_SX_SO_SY_EEES1H_S1I_lEENS3_INS4_IJSS_SF_SF_NSB_INS4_IJiNS7_IiLi2EEENS7_IiLi64EEEEEELb0EEES1Q_EEENS4_IJSI_SK_SJ_SX_SY_EEENS4_IJSM_SX_SY_NSH_IJLi5ELi6ELi7EEEENSH_IJLi8ELi9ELi10EEEEEEENSH_IJLi5ELi6ELi7ELi8ELi9ELi10EEEElEENS_31BlockToCTileMap_M00_N00_M01_N01ILi128ELi128ES10_Lb0EEELb0ELb0EEEvPKT0_S22_PT1_T2_T3_T4_T5_,comdat
	.protected	_ZN2ck19kernel_gemm_dl_v1r3INS_28GridwiseGemmDl_km_kn_mn_v1r3ILi256EfffLNS_25InMemoryDataOperationEnumE0ENS_16TensorDescriptorINS_5TupleIJNS_5EmbedINS4_IJiiEEENS4_IJNS_17integral_constantIiLi1EEEiEEELb0EEENS_7UnMergeINS4_IJiS8_EEELb0EEENS_11PassThroughIiEEEEENS4_IJNS_8SequenceIJLi0EEEENSH_IJLi2EEEENSH_IJLi1EEEEEEENS4_IJNSH_IJLi1ELi2EEEENSH_IJLi3ELi4EEEENSH_IJLi5EEEEEEENSH_IJLi3ELi5ELi4EEEElEENS3_INS4_IJNS5_IS6_SC_Lb0EEESD_SF_EEENS4_IJSI_SK_SJ_EEESP_SQ_lEENS3_INS4_IJSS_SF_SF_EEESU_NS4_IJSM_NSH_IJLi3EEEENSH_IJLi4EEEEEEESN_lEELi128ELi128ELi16ELi1ELi4ELi4ELi1ENSH_IJLi8ELi2EEEES11_NSH_IJLi2ELi1ELi4ELi1EEEENSH_IJLi8ELi1ELi32ELi1EEEENSH_IJLi0ELi3ELi1ELi2EEEES14_NSH_IJLi1ELi1ELi4ELi1EEEES14_S15_S12_S13_S14_S14_S15_S14_S15_NSH_IJLi0ELi1ELi2ELi3ELi4ELi5EEEELi5ELi4EEEffNS3_INS4_IJSA_SD_SF_SF_NSB_INS4_IJiNS7_IiLi128EEEEEELb0EEENSE_IS8_EEEEENS4_IJSI_SJ_SK_SX_SO_SY_EEENS4_IJSM_SN_SO_NSH_IJLi6EEEENSH_IJLi7ELi8EEEENSH_IJLi9EEEEEEENSH_IJLi6ELi7ELi8ELi9EEEElEENS3_INS4_IJSS_SD_SF_SF_S1A_S1B_EEENS4_IJSI_SK_SJ_SX_SO_SY_EEES1H_S1I_lEENS3_INS4_IJSS_SF_SF_NSB_INS4_IJiNS7_IiLi2EEENS7_IiLi64EEEEEELb0EEES1Q_EEENS4_IJSI_SK_SJ_SX_SY_EEENS4_IJSM_SX_SY_NSH_IJLi5ELi6ELi7EEEENSH_IJLi8ELi9ELi10EEEEEEENSH_IJLi5ELi6ELi7ELi8ELi9ELi10EEEElEENS_31BlockToCTileMap_M00_N00_M01_N01ILi128ELi128ES10_Lb0EEELb0ELb0EEEvPKT0_S22_PT1_T2_T3_T4_T5_ ; -- Begin function _ZN2ck19kernel_gemm_dl_v1r3INS_28GridwiseGemmDl_km_kn_mn_v1r3ILi256EfffLNS_25InMemoryDataOperationEnumE0ENS_16TensorDescriptorINS_5TupleIJNS_5EmbedINS4_IJiiEEENS4_IJNS_17integral_constantIiLi1EEEiEEELb0EEENS_7UnMergeINS4_IJiS8_EEELb0EEENS_11PassThroughIiEEEEENS4_IJNS_8SequenceIJLi0EEEENSH_IJLi2EEEENSH_IJLi1EEEEEEENS4_IJNSH_IJLi1ELi2EEEENSH_IJLi3ELi4EEEENSH_IJLi5EEEEEEENSH_IJLi3ELi5ELi4EEEElEENS3_INS4_IJNS5_IS6_SC_Lb0EEESD_SF_EEENS4_IJSI_SK_SJ_EEESP_SQ_lEENS3_INS4_IJSS_SF_SF_EEESU_NS4_IJSM_NSH_IJLi3EEEENSH_IJLi4EEEEEEESN_lEELi128ELi128ELi16ELi1ELi4ELi4ELi1ENSH_IJLi8ELi2EEEES11_NSH_IJLi2ELi1ELi4ELi1EEEENSH_IJLi8ELi1ELi32ELi1EEEENSH_IJLi0ELi3ELi1ELi2EEEES14_NSH_IJLi1ELi1ELi4ELi1EEEES14_S15_S12_S13_S14_S14_S15_S14_S15_NSH_IJLi0ELi1ELi2ELi3ELi4ELi5EEEELi5ELi4EEEffNS3_INS4_IJSA_SD_SF_SF_NSB_INS4_IJiNS7_IiLi128EEEEEELb0EEENSE_IS8_EEEEENS4_IJSI_SJ_SK_SX_SO_SY_EEENS4_IJSM_SN_SO_NSH_IJLi6EEEENSH_IJLi7ELi8EEEENSH_IJLi9EEEEEEENSH_IJLi6ELi7ELi8ELi9EEEElEENS3_INS4_IJSS_SD_SF_SF_S1A_S1B_EEENS4_IJSI_SK_SJ_SX_SO_SY_EEES1H_S1I_lEENS3_INS4_IJSS_SF_SF_NSB_INS4_IJiNS7_IiLi2EEENS7_IiLi64EEEEEELb0EEES1Q_EEENS4_IJSI_SK_SJ_SX_SY_EEENS4_IJSM_SX_SY_NSH_IJLi5ELi6ELi7EEEENSH_IJLi8ELi9ELi10EEEEEEENSH_IJLi5ELi6ELi7ELi8ELi9ELi10EEEElEENS_31BlockToCTileMap_M00_N00_M01_N01ILi128ELi128ES10_Lb0EEELb0ELb0EEEvPKT0_S22_PT1_T2_T3_T4_T5_
	.globl	_ZN2ck19kernel_gemm_dl_v1r3INS_28GridwiseGemmDl_km_kn_mn_v1r3ILi256EfffLNS_25InMemoryDataOperationEnumE0ENS_16TensorDescriptorINS_5TupleIJNS_5EmbedINS4_IJiiEEENS4_IJNS_17integral_constantIiLi1EEEiEEELb0EEENS_7UnMergeINS4_IJiS8_EEELb0EEENS_11PassThroughIiEEEEENS4_IJNS_8SequenceIJLi0EEEENSH_IJLi2EEEENSH_IJLi1EEEEEEENS4_IJNSH_IJLi1ELi2EEEENSH_IJLi3ELi4EEEENSH_IJLi5EEEEEEENSH_IJLi3ELi5ELi4EEEElEENS3_INS4_IJNS5_IS6_SC_Lb0EEESD_SF_EEENS4_IJSI_SK_SJ_EEESP_SQ_lEENS3_INS4_IJSS_SF_SF_EEESU_NS4_IJSM_NSH_IJLi3EEEENSH_IJLi4EEEEEEESN_lEELi128ELi128ELi16ELi1ELi4ELi4ELi1ENSH_IJLi8ELi2EEEES11_NSH_IJLi2ELi1ELi4ELi1EEEENSH_IJLi8ELi1ELi32ELi1EEEENSH_IJLi0ELi3ELi1ELi2EEEES14_NSH_IJLi1ELi1ELi4ELi1EEEES14_S15_S12_S13_S14_S14_S15_S14_S15_NSH_IJLi0ELi1ELi2ELi3ELi4ELi5EEEELi5ELi4EEEffNS3_INS4_IJSA_SD_SF_SF_NSB_INS4_IJiNS7_IiLi128EEEEEELb0EEENSE_IS8_EEEEENS4_IJSI_SJ_SK_SX_SO_SY_EEENS4_IJSM_SN_SO_NSH_IJLi6EEEENSH_IJLi7ELi8EEEENSH_IJLi9EEEEEEENSH_IJLi6ELi7ELi8ELi9EEEElEENS3_INS4_IJSS_SD_SF_SF_S1A_S1B_EEENS4_IJSI_SK_SJ_SX_SO_SY_EEES1H_S1I_lEENS3_INS4_IJSS_SF_SF_NSB_INS4_IJiNS7_IiLi2EEENS7_IiLi64EEEEEELb0EEES1Q_EEENS4_IJSI_SK_SJ_SX_SY_EEENS4_IJSM_SX_SY_NSH_IJLi5ELi6ELi7EEEENSH_IJLi8ELi9ELi10EEEEEEENSH_IJLi5ELi6ELi7ELi8ELi9ELi10EEEElEENS_31BlockToCTileMap_M00_N00_M01_N01ILi128ELi128ES10_Lb0EEELb0ELb0EEEvPKT0_S22_PT1_T2_T3_T4_T5_
	.p2align	8
	.type	_ZN2ck19kernel_gemm_dl_v1r3INS_28GridwiseGemmDl_km_kn_mn_v1r3ILi256EfffLNS_25InMemoryDataOperationEnumE0ENS_16TensorDescriptorINS_5TupleIJNS_5EmbedINS4_IJiiEEENS4_IJNS_17integral_constantIiLi1EEEiEEELb0EEENS_7UnMergeINS4_IJiS8_EEELb0EEENS_11PassThroughIiEEEEENS4_IJNS_8SequenceIJLi0EEEENSH_IJLi2EEEENSH_IJLi1EEEEEEENS4_IJNSH_IJLi1ELi2EEEENSH_IJLi3ELi4EEEENSH_IJLi5EEEEEEENSH_IJLi3ELi5ELi4EEEElEENS3_INS4_IJNS5_IS6_SC_Lb0EEESD_SF_EEENS4_IJSI_SK_SJ_EEESP_SQ_lEENS3_INS4_IJSS_SF_SF_EEESU_NS4_IJSM_NSH_IJLi3EEEENSH_IJLi4EEEEEEESN_lEELi128ELi128ELi16ELi1ELi4ELi4ELi1ENSH_IJLi8ELi2EEEES11_NSH_IJLi2ELi1ELi4ELi1EEEENSH_IJLi8ELi1ELi32ELi1EEEENSH_IJLi0ELi3ELi1ELi2EEEES14_NSH_IJLi1ELi1ELi4ELi1EEEES14_S15_S12_S13_S14_S14_S15_S14_S15_NSH_IJLi0ELi1ELi2ELi3ELi4ELi5EEEELi5ELi4EEEffNS3_INS4_IJSA_SD_SF_SF_NSB_INS4_IJiNS7_IiLi128EEEEEELb0EEENSE_IS8_EEEEENS4_IJSI_SJ_SK_SX_SO_SY_EEENS4_IJSM_SN_SO_NSH_IJLi6EEEENSH_IJLi7ELi8EEEENSH_IJLi9EEEEEEENSH_IJLi6ELi7ELi8ELi9EEEElEENS3_INS4_IJSS_SD_SF_SF_S1A_S1B_EEENS4_IJSI_SK_SJ_SX_SO_SY_EEES1H_S1I_lEENS3_INS4_IJSS_SF_SF_NSB_INS4_IJiNS7_IiLi2EEENS7_IiLi64EEEEEELb0EEES1Q_EEENS4_IJSI_SK_SJ_SX_SY_EEENS4_IJSM_SX_SY_NSH_IJLi5ELi6ELi7EEEENSH_IJLi8ELi9ELi10EEEEEEENSH_IJLi5ELi6ELi7ELi8ELi9ELi10EEEElEENS_31BlockToCTileMap_M00_N00_M01_N01ILi128ELi128ES10_Lb0EEELb0ELb0EEEvPKT0_S22_PT1_T2_T3_T4_T5_,@function
_ZN2ck19kernel_gemm_dl_v1r3INS_28GridwiseGemmDl_km_kn_mn_v1r3ILi256EfffLNS_25InMemoryDataOperationEnumE0ENS_16TensorDescriptorINS_5TupleIJNS_5EmbedINS4_IJiiEEENS4_IJNS_17integral_constantIiLi1EEEiEEELb0EEENS_7UnMergeINS4_IJiS8_EEELb0EEENS_11PassThroughIiEEEEENS4_IJNS_8SequenceIJLi0EEEENSH_IJLi2EEEENSH_IJLi1EEEEEEENS4_IJNSH_IJLi1ELi2EEEENSH_IJLi3ELi4EEEENSH_IJLi5EEEEEEENSH_IJLi3ELi5ELi4EEEElEENS3_INS4_IJNS5_IS6_SC_Lb0EEESD_SF_EEENS4_IJSI_SK_SJ_EEESP_SQ_lEENS3_INS4_IJSS_SF_SF_EEESU_NS4_IJSM_NSH_IJLi3EEEENSH_IJLi4EEEEEEESN_lEELi128ELi128ELi16ELi1ELi4ELi4ELi1ENSH_IJLi8ELi2EEEES11_NSH_IJLi2ELi1ELi4ELi1EEEENSH_IJLi8ELi1ELi32ELi1EEEENSH_IJLi0ELi3ELi1ELi2EEEES14_NSH_IJLi1ELi1ELi4ELi1EEEES14_S15_S12_S13_S14_S14_S15_S14_S15_NSH_IJLi0ELi1ELi2ELi3ELi4ELi5EEEELi5ELi4EEEffNS3_INS4_IJSA_SD_SF_SF_NSB_INS4_IJiNS7_IiLi128EEEEEELb0EEENSE_IS8_EEEEENS4_IJSI_SJ_SK_SX_SO_SY_EEENS4_IJSM_SN_SO_NSH_IJLi6EEEENSH_IJLi7ELi8EEEENSH_IJLi9EEEEEEENSH_IJLi6ELi7ELi8ELi9EEEElEENS3_INS4_IJSS_SD_SF_SF_S1A_S1B_EEENS4_IJSI_SK_SJ_SX_SO_SY_EEES1H_S1I_lEENS3_INS4_IJSS_SF_SF_NSB_INS4_IJiNS7_IiLi2EEENS7_IiLi64EEEEEELb0EEES1Q_EEENS4_IJSI_SK_SJ_SX_SY_EEENS4_IJSM_SX_SY_NSH_IJLi5ELi6ELi7EEEENSH_IJLi8ELi9ELi10EEEEEEENSH_IJLi5ELi6ELi7ELi8ELi9ELi10EEEElEENS_31BlockToCTileMap_M00_N00_M01_N01ILi128ELi128ES10_Lb0EEELb0ELb0EEEvPKT0_S22_PT1_T2_T3_T4_T5_: ; @_ZN2ck19kernel_gemm_dl_v1r3INS_28GridwiseGemmDl_km_kn_mn_v1r3ILi256EfffLNS_25InMemoryDataOperationEnumE0ENS_16TensorDescriptorINS_5TupleIJNS_5EmbedINS4_IJiiEEENS4_IJNS_17integral_constantIiLi1EEEiEEELb0EEENS_7UnMergeINS4_IJiS8_EEELb0EEENS_11PassThroughIiEEEEENS4_IJNS_8SequenceIJLi0EEEENSH_IJLi2EEEENSH_IJLi1EEEEEEENS4_IJNSH_IJLi1ELi2EEEENSH_IJLi3ELi4EEEENSH_IJLi5EEEEEEENSH_IJLi3ELi5ELi4EEEElEENS3_INS4_IJNS5_IS6_SC_Lb0EEESD_SF_EEENS4_IJSI_SK_SJ_EEESP_SQ_lEENS3_INS4_IJSS_SF_SF_EEESU_NS4_IJSM_NSH_IJLi3EEEENSH_IJLi4EEEEEEESN_lEELi128ELi128ELi16ELi1ELi4ELi4ELi1ENSH_IJLi8ELi2EEEES11_NSH_IJLi2ELi1ELi4ELi1EEEENSH_IJLi8ELi1ELi32ELi1EEEENSH_IJLi0ELi3ELi1ELi2EEEES14_NSH_IJLi1ELi1ELi4ELi1EEEES14_S15_S12_S13_S14_S14_S15_S14_S15_NSH_IJLi0ELi1ELi2ELi3ELi4ELi5EEEELi5ELi4EEEffNS3_INS4_IJSA_SD_SF_SF_NSB_INS4_IJiNS7_IiLi128EEEEEELb0EEENSE_IS8_EEEEENS4_IJSI_SJ_SK_SX_SO_SY_EEENS4_IJSM_SN_SO_NSH_IJLi6EEEENSH_IJLi7ELi8EEEENSH_IJLi9EEEEEEENSH_IJLi6ELi7ELi8ELi9EEEElEENS3_INS4_IJSS_SD_SF_SF_S1A_S1B_EEENS4_IJSI_SK_SJ_SX_SO_SY_EEES1H_S1I_lEENS3_INS4_IJSS_SF_SF_NSB_INS4_IJiNS7_IiLi2EEENS7_IiLi64EEEEEELb0EEES1Q_EEENS4_IJSI_SK_SJ_SX_SY_EEENS4_IJSM_SX_SY_NSH_IJLi5ELi6ELi7EEEENSH_IJLi8ELi9ELi10EEEEEEENSH_IJLi5ELi6ELi7ELi8ELi9ELi10EEEElEENS_31BlockToCTileMap_M00_N00_M01_N01ILi128ELi128ES10_Lb0EEELb0ELb0EEEvPKT0_S22_PT1_T2_T3_T4_T5_
; %bb.0:
	s_clause 0x2
	s_load_b128 s[20:23], s[0:1], 0x11c
	s_load_b128 s[16:19], s[0:1], 0x130
	;; [unrolled: 1-line block ×3, first 2 shown]
	v_lshrrev_b32_e32 v1, 4, v0
	v_lshlrev_b32_e32 v2, 2, v0
	s_mov_b32 s3, 0x31004000
	v_dual_mov_b32 v40, 0 :: v_dual_lshlrev_b32 v43, 1, v0
	s_delay_alu instid0(VALU_DEP_3) | instskip(NEXT) | instid1(VALU_DEP_3)
	v_dual_mov_b32 v8, 0 :: v_dual_and_b32 v1, 14, v1
	v_dual_mov_b32 v9, 0 :: v_dual_and_b32 v46, 0x7c, v2
	v_lshrrev_b32_e32 v0, 5, v0
	s_delay_alu instid0(VALU_DEP_4) | instskip(SKIP_1) | instid1(VALU_DEP_3)
	v_dual_mov_b32 v44, 0 :: v_dual_and_b32 v47, 0x1f8, v43
	v_dual_mov_b32 v43, 0 :: v_dual_and_b32 v48, 0x1fc, v43
	v_lshlrev_b32_e32 v49, 6, v0
	v_dual_mov_b32 v45, 0 :: v_dual_lshlrev_b32 v62, 2, v46
	s_waitcnt lgkmcnt(0)
	s_mul_hi_u32 s2, s23, s15
	s_clause 0x2
	s_load_b32 s13, s[0:1], 0x24
	s_load_b32 s14, s[0:1], 0x50
	;; [unrolled: 1-line block ×3, first 2 shown]
	s_add_i32 s2, s15, s2
	s_clause 0x1
	s_load_b128 s[24:27], s[0:1], 0x0
	s_load_b64 s[4:5], s[0:1], 0x10
	s_lshr_b32 s2, s2, s19
	v_sub_nc_u32_e32 v48, v48, v47
	s_mul_hi_u32 s6, s2, s22
	s_mul_i32 s11, s2, s11
	s_add_i32 s7, s2, s6
	s_clause 0x3
	s_load_b32 s19, s[0:1], 0x90
	s_load_b32 s12, s[0:1], 0xa0
	;; [unrolled: 1-line block ×4, first 2 shown]
	s_lshr_b32 s7, s7, s18
	s_load_b32 s0, s[0:1], 0xfc
	s_mul_hi_u32 s1, s7, s21
	s_sub_i32 s11, s15, s11
	s_add_i32 s1, s7, s1
	s_mul_i32 s10, s7, s10
	s_lshr_b32 s1, s1, s17
	s_sub_i32 s2, s2, s10
	s_mul_hi_u32 s17, s1, s20
	s_waitcnt lgkmcnt(0)
	v_mul_lo_u32 v3, s13, v1
	s_add_i32 s17, s1, s17
	v_mul_lo_u32 v4, s23, v1
	s_lshr_b32 s15, s17, s16
	v_lshl_add_u32 v65, v0, 3, v48
	s_mul_i32 s15, s15, s8
	v_lshl_or_b32 v0, v1, 9, v62
	s_sub_i32 s8, s1, s15
	s_mul_i32 s1, s1, s9
	v_dual_mov_b32 v16, 0 :: v_dual_mov_b32 v17, 0
	s_mul_i32 s8, s8, s22
	s_sub_i32 s1, s7, s1
	s_add_i32 s2, s2, s8
	s_mul_i32 s1, s1, s0
	s_lshl_b32 s8, s2, 7
	s_add_i32 s11, s11, s1
	v_add3_u32 v3, v3, v46, s8
	s_lshl_b32 s7, s11, 7
	s_lshl_b32 s2, s14, 2
	v_add3_u32 v4, v4, v46, s7
	s_mov_b32 s0, s24
	v_dual_mov_b32 v10, 0 :: v_dual_lshlrev_b32 v5, 2, v3
	v_add_lshl_u32 v3, v3, s13, 2
	s_delay_alu instid0(VALU_DEP_3)
	v_dual_mov_b32 v11, 0 :: v_dual_lshlrev_b32 v6, 2, v4
	s_mov_b32 s1, s25
	v_add_lshl_u32 v4, v4, s23, 2
	s_clause 0x1
	buffer_load_b128 v[50:53], v5, s[0:3], 0 offen
	buffer_load_b128 v[54:57], v3, s[0:3], 0 offen
	s_lshl_b32 s2, s19, 2
	s_mov_b32 s0, s26
	s_mov_b32 s1, s27
	s_clause 0x1
	buffer_load_b128 v[58:61], v6, s[0:3], 0 offen
	buffer_load_b128 v[68:71], v4, s[0:3], 0 offen
	v_mov_b32_e32 v46, 0
	v_sub_nc_u32_e32 v49, v47, v49
	v_dual_mov_b32 v3, 0 :: v_dual_lshlrev_b32 v66, 2, v65
	v_dual_mov_b32 v4, 0 :: v_dual_mov_b32 v5, 0
	s_delay_alu instid0(VALU_DEP_3) | instskip(SKIP_3) | instid1(VALU_DEP_4)
	v_and_or_b32 v64, v2, 4, v49
	v_dual_mov_b32 v49, 0 :: v_dual_mov_b32 v6, 0
	v_dual_mov_b32 v7, 0 :: v_dual_mov_b32 v18, 0
	v_mov_b32_e32 v19, 0
	v_dual_mov_b32 v12, 0 :: v_dual_lshlrev_b32 v67, 2, v64
	v_dual_mov_b32 v13, 0 :: v_dual_mov_b32 v14, 0
	v_dual_mov_b32 v15, 0 :: v_dual_mov_b32 v28, 0
	;; [unrolled: 1-line block ×11, first 2 shown]
	v_mov_b32_e32 v23, 0
	v_dual_mov_b32 v41, 0 :: v_dual_mov_b32 v42, 0
	v_dual_mov_b32 v47, 0 :: v_dual_mov_b32 v48, 0
	v_mov_b32_e32 v63, 0
	v_dual_mov_b32 v1, 0 :: v_dual_mov_b32 v2, 0
	v_add_nc_u32_e32 v65, s8, v65
	s_lshl_b32 s6, s6, 2
	s_waitcnt vmcnt(3)
	ds_store_b128 v0, v[50:53]
	s_waitcnt vmcnt(2)
	ds_store_b128 v0, v[54:57] offset:512
	s_waitcnt vmcnt(1)
	ds_store_b128 v0, v[58:61] offset:16384
	;; [unrolled: 2-line block ×3, first 2 shown]
	s_waitcnt lgkmcnt(0)
	s_barrier
	buffer_gl0_inv
	v_mov_b32_e32 v50, 0
	ds_load_b128 v[68:71], v66
	ds_load_b128 v[72:75], v67 offset:16384
	v_dual_mov_b32 v51, 0 :: v_dual_mov_b32 v52, 0
	v_dual_mov_b32 v53, 0 :: v_dual_mov_b32 v54, 0
	;; [unrolled: 1-line block ×6, first 2 shown]
	v_mov_b32_e32 v0, 0
	ds_load_b128 v[76:79], v67 offset:16640
	ds_load_b128 v[80:83], v66 offset:256
	s_waitcnt lgkmcnt(2)
	;;#ASMSTART
	
             v_fmac_f32 v8, v68, v72 
             
	;;#ASMEND
	;;#ASMSTART
	
             v_fmac_f32 v9, v68, v73 
             
	;;#ASMEND
	;; [unrolled: 5-line block ×16, first 2 shown]
	s_waitcnt lgkmcnt(1)
	;;#ASMSTART
	
             v_fmac_f32 v28, v68, v76 
             
	;;#ASMEND
	;;#ASMSTART
	
             v_fmac_f32 v29, v68, v77 
             
	;;#ASMEND
	;; [unrolled: 5-line block ×16, first 2 shown]
	ds_load_b128 v[68:71], v66 offset:512
	s_waitcnt lgkmcnt(1)
	;;#ASMSTART
	
             v_fmac_f32 v20, v80, v72 
             
	;;#ASMEND
	;;#ASMSTART
	
             v_fmac_f32 v21, v80, v73 
             
	;;#ASMEND
	;; [unrolled: 5-line block ×16, first 2 shown]
	ds_load_b128 v[72:75], v67 offset:16896
	;;#ASMSTART
	
             v_fmac_f32 v52, v80, v76 
             
	;;#ASMEND
	;;#ASMSTART
	
             v_fmac_f32 v53, v80, v77 
             
	;;#ASMEND
	;; [unrolled: 5-line block ×16, first 2 shown]
	ds_load_b128 v[76:79], v67 offset:17152
	ds_load_b128 v[80:83], v66 offset:768
	s_waitcnt lgkmcnt(2)
	;;#ASMSTART
	
             v_fmac_f32 v8, v68, v72 
             
	;;#ASMEND
	;;#ASMSTART
	
             v_fmac_f32 v9, v68, v73 
             
	;;#ASMEND
	;; [unrolled: 5-line block ×16, first 2 shown]
	s_waitcnt lgkmcnt(1)
	;;#ASMSTART
	
             v_fmac_f32 v28, v68, v76 
             
	;;#ASMEND
	;;#ASMSTART
	
             v_fmac_f32 v29, v68, v77 
             
	;;#ASMEND
	;; [unrolled: 5-line block ×16, first 2 shown]
	ds_load_b128 v[68:71], v66 offset:1024
	s_waitcnt lgkmcnt(1)
	;;#ASMSTART
	
             v_fmac_f32 v20, v80, v72 
             
	;;#ASMEND
	;;#ASMSTART
	
             v_fmac_f32 v21, v80, v73 
             
	;;#ASMEND
	;;#ASMSTART
	
             v_fmac_f32 v22, v80, v74 
             
	;;#ASMEND
	;;#ASMSTART
	
             v_fmac_f32 v23, v80, v75 
             
	;;#ASMEND
	;;#ASMSTART
	
             v_fmac_f32 v40, v81, v72 
             
	;;#ASMEND
	;;#ASMSTART
	
             v_fmac_f32 v41, v81, v73 
             
	;;#ASMEND
	;;#ASMSTART
	
             v_fmac_f32 v42, v81, v74 
             
	;;#ASMEND
	;;#ASMSTART
	
             v_fmac_f32 v43, v81, v75 
             
	;;#ASMEND
	;;#ASMSTART
	
             v_fmac_f32 v44, v82, v72 
             
	;;#ASMEND
	;;#ASMSTART
	
             v_fmac_f32 v45, v82, v73 
             
	;;#ASMEND
	;;#ASMSTART
	
             v_fmac_f32 v46, v82, v74 
             
	;;#ASMEND
	;;#ASMSTART
	
             v_fmac_f32 v47, v82, v75 
             
	;;#ASMEND
	;;#ASMSTART
	
             v_fmac_f32 v48, v83, v72 
             
	;;#ASMEND
	;;#ASMSTART
	
             v_fmac_f32 v49, v83, v73 
             
	;;#ASMEND
	;;#ASMSTART
	
             v_fmac_f32 v50, v83, v74 
             
	;;#ASMEND
	;;#ASMSTART
	
             v_fmac_f32 v51, v83, v75 
             
	;;#ASMEND
	ds_load_b128 v[72:75], v67 offset:17408
	;;#ASMSTART
	
             v_fmac_f32 v52, v80, v76 
             
	;;#ASMEND
	;;#ASMSTART
	
             v_fmac_f32 v53, v80, v77 
             
	;;#ASMEND
	;; [unrolled: 5-line block ×16, first 2 shown]
	ds_load_b128 v[76:79], v67 offset:17664
	ds_load_b128 v[80:83], v66 offset:1280
	s_waitcnt lgkmcnt(2)
	;;#ASMSTART
	
             v_fmac_f32 v8, v68, v72 
             
	;;#ASMEND
	;;#ASMSTART
	
             v_fmac_f32 v9, v68, v73 
             
	;;#ASMEND
	;; [unrolled: 5-line block ×16, first 2 shown]
	s_waitcnt lgkmcnt(1)
	;;#ASMSTART
	
             v_fmac_f32 v28, v68, v76 
             
	;;#ASMEND
	;;#ASMSTART
	
             v_fmac_f32 v29, v68, v77 
             
	;;#ASMEND
	;; [unrolled: 5-line block ×16, first 2 shown]
	ds_load_b128 v[68:71], v66 offset:1536
	s_waitcnt lgkmcnt(1)
	;;#ASMSTART
	
             v_fmac_f32 v20, v80, v72 
             
	;;#ASMEND
	;;#ASMSTART
	
             v_fmac_f32 v21, v80, v73 
             
	;;#ASMEND
	;; [unrolled: 5-line block ×16, first 2 shown]
	ds_load_b128 v[72:75], v67 offset:17920
	;;#ASMSTART
	
             v_fmac_f32 v52, v80, v76 
             
	;;#ASMEND
	;;#ASMSTART
	
             v_fmac_f32 v53, v80, v77 
             
	;;#ASMEND
	;; [unrolled: 5-line block ×16, first 2 shown]
	ds_load_b128 v[76:79], v67 offset:18176
	ds_load_b128 v[80:83], v66 offset:1792
	s_waitcnt lgkmcnt(2)
	;;#ASMSTART
	
             v_fmac_f32 v8, v68, v72 
             
	;;#ASMEND
	;;#ASMSTART
	
             v_fmac_f32 v9, v68, v73 
             
	;;#ASMEND
	;; [unrolled: 5-line block ×16, first 2 shown]
	s_waitcnt lgkmcnt(1)
	;;#ASMSTART
	
             v_fmac_f32 v28, v68, v76 
             
	;;#ASMEND
	;;#ASMSTART
	
             v_fmac_f32 v29, v68, v77 
             
	;;#ASMEND
	;; [unrolled: 5-line block ×16, first 2 shown]
	ds_load_b128 v[68:71], v66 offset:2048
	s_waitcnt lgkmcnt(1)
	;;#ASMSTART
	
             v_fmac_f32 v20, v80, v72 
             
	;;#ASMEND
	;;#ASMSTART
	
             v_fmac_f32 v21, v80, v73 
             
	;;#ASMEND
	;; [unrolled: 5-line block ×16, first 2 shown]
	ds_load_b128 v[72:75], v67 offset:18432
	;;#ASMSTART
	
             v_fmac_f32 v52, v80, v76 
             
	;;#ASMEND
	;;#ASMSTART
	
             v_fmac_f32 v53, v80, v77 
             
	;;#ASMEND
	;; [unrolled: 5-line block ×16, first 2 shown]
	ds_load_b128 v[76:79], v67 offset:18688
	ds_load_b128 v[80:83], v66 offset:2304
	s_waitcnt lgkmcnt(2)
	;;#ASMSTART
	
             v_fmac_f32 v8, v68, v72 
             
	;;#ASMEND
	;;#ASMSTART
	
             v_fmac_f32 v9, v68, v73 
             
	;;#ASMEND
	;; [unrolled: 5-line block ×16, first 2 shown]
	s_waitcnt lgkmcnt(1)
	;;#ASMSTART
	
             v_fmac_f32 v28, v68, v76 
             
	;;#ASMEND
	;;#ASMSTART
	
             v_fmac_f32 v29, v68, v77 
             
	;;#ASMEND
	;; [unrolled: 5-line block ×16, first 2 shown]
	ds_load_b128 v[68:71], v66 offset:2560
	s_waitcnt lgkmcnt(1)
	;;#ASMSTART
	
             v_fmac_f32 v20, v80, v72 
             
	;;#ASMEND
	;;#ASMSTART
	
             v_fmac_f32 v21, v80, v73 
             
	;;#ASMEND
	;;#ASMSTART
	
             v_fmac_f32 v22, v80, v74 
             
	;;#ASMEND
	;;#ASMSTART
	
             v_fmac_f32 v23, v80, v75 
             
	;;#ASMEND
	;;#ASMSTART
	
             v_fmac_f32 v40, v81, v72 
             
	;;#ASMEND
	;;#ASMSTART
	
             v_fmac_f32 v41, v81, v73 
             
	;;#ASMEND
	;;#ASMSTART
	
             v_fmac_f32 v42, v81, v74 
             
	;;#ASMEND
	;;#ASMSTART
	
             v_fmac_f32 v43, v81, v75 
             
	;;#ASMEND
	;;#ASMSTART
	
             v_fmac_f32 v44, v82, v72 
             
	;;#ASMEND
	;;#ASMSTART
	
             v_fmac_f32 v45, v82, v73 
             
	;;#ASMEND
	;;#ASMSTART
	
             v_fmac_f32 v46, v82, v74 
             
	;;#ASMEND
	;;#ASMSTART
	
             v_fmac_f32 v47, v82, v75 
             
	;;#ASMEND
	;;#ASMSTART
	
             v_fmac_f32 v48, v83, v72 
             
	;;#ASMEND
	;;#ASMSTART
	
             v_fmac_f32 v49, v83, v73 
             
	;;#ASMEND
	;;#ASMSTART
	
             v_fmac_f32 v50, v83, v74 
             
	;;#ASMEND
	;;#ASMSTART
	
             v_fmac_f32 v51, v83, v75 
             
	;;#ASMEND
	ds_load_b128 v[72:75], v67 offset:18944
	;;#ASMSTART
	
             v_fmac_f32 v52, v80, v76 
             
	;;#ASMEND
	;;#ASMSTART
	
             v_fmac_f32 v53, v80, v77 
             
	;;#ASMEND
	;; [unrolled: 5-line block ×16, first 2 shown]
	ds_load_b128 v[76:79], v67 offset:19200
	ds_load_b128 v[80:83], v66 offset:2816
	s_waitcnt lgkmcnt(2)
	;;#ASMSTART
	
             v_fmac_f32 v8, v68, v72 
             
	;;#ASMEND
	;;#ASMSTART
	
             v_fmac_f32 v9, v68, v73 
             
	;;#ASMEND
	;; [unrolled: 5-line block ×16, first 2 shown]
	s_waitcnt lgkmcnt(1)
	;;#ASMSTART
	
             v_fmac_f32 v28, v68, v76 
             
	;;#ASMEND
	;;#ASMSTART
	
             v_fmac_f32 v29, v68, v77 
             
	;;#ASMEND
	;; [unrolled: 5-line block ×16, first 2 shown]
	ds_load_b128 v[68:71], v66 offset:3072
	s_waitcnt lgkmcnt(1)
	;;#ASMSTART
	
             v_fmac_f32 v20, v80, v72 
             
	;;#ASMEND
	;;#ASMSTART
	
             v_fmac_f32 v21, v80, v73 
             
	;;#ASMEND
	;; [unrolled: 5-line block ×16, first 2 shown]
	ds_load_b128 v[72:75], v67 offset:19456
	;;#ASMSTART
	
             v_fmac_f32 v52, v80, v76 
             
	;;#ASMEND
	;;#ASMSTART
	
             v_fmac_f32 v53, v80, v77 
             
	;;#ASMEND
	;; [unrolled: 5-line block ×16, first 2 shown]
	ds_load_b128 v[76:79], v67 offset:19712
	ds_load_b128 v[80:83], v66 offset:3328
	s_waitcnt lgkmcnt(2)
	;;#ASMSTART
	
             v_fmac_f32 v8, v68, v72 
             
	;;#ASMEND
	;;#ASMSTART
	
             v_fmac_f32 v9, v68, v73 
             
	;;#ASMEND
	;;#ASMSTART
	
             v_fmac_f32 v10, v68, v74 
             
	;;#ASMEND
	;;#ASMSTART
	
             v_fmac_f32 v11, v68, v75 
             
	;;#ASMEND
	;;#ASMSTART
	
             v_fmac_f32 v4, v69, v72 
             
	;;#ASMEND
	;;#ASMSTART
	
             v_fmac_f32 v5, v69, v73 
             
	;;#ASMEND
	;;#ASMSTART
	
             v_fmac_f32 v6, v69, v74 
             
	;;#ASMEND
	;;#ASMSTART
	
             v_fmac_f32 v7, v69, v75 
             
	;;#ASMEND
	;;#ASMSTART
	
             v_fmac_f32 v16, v70, v72 
             
	;;#ASMEND
	;;#ASMSTART
	
             v_fmac_f32 v17, v70, v73 
             
	;;#ASMEND
	;;#ASMSTART
	
             v_fmac_f32 v18, v70, v74 
             
	;;#ASMEND
	;;#ASMSTART
	
             v_fmac_f32 v19, v70, v75 
             
	;;#ASMEND
	;;#ASMSTART
	
             v_fmac_f32 v12, v71, v72 
             
	;;#ASMEND
	;;#ASMSTART
	
             v_fmac_f32 v13, v71, v73 
             
	;;#ASMEND
	;;#ASMSTART
	
             v_fmac_f32 v14, v71, v74 
             
	;;#ASMEND
	;;#ASMSTART
	
             v_fmac_f32 v15, v71, v75 
             
	;;#ASMEND
	s_waitcnt lgkmcnt(1)
	;;#ASMSTART
	
             v_fmac_f32 v28, v68, v76 
             
	;;#ASMEND
	;;#ASMSTART
	
             v_fmac_f32 v29, v68, v77 
             
	;;#ASMEND
	;; [unrolled: 5-line block ×16, first 2 shown]
	ds_load_b128 v[68:71], v66 offset:3584
	s_waitcnt lgkmcnt(1)
	;;#ASMSTART
	
             v_fmac_f32 v20, v80, v72 
             
	;;#ASMEND
	;;#ASMSTART
	
             v_fmac_f32 v21, v80, v73 
             
	;;#ASMEND
	;; [unrolled: 5-line block ×16, first 2 shown]
	ds_load_b128 v[72:75], v67 offset:19968
	;;#ASMSTART
	
             v_fmac_f32 v52, v80, v76 
             
	;;#ASMEND
	;;#ASMSTART
	
             v_fmac_f32 v53, v80, v77 
             
	;;#ASMEND
	;; [unrolled: 5-line block ×16, first 2 shown]
	ds_load_b128 v[76:79], v67 offset:20224
	ds_load_b128 v[80:83], v66 offset:3840
	s_waitcnt lgkmcnt(2)
	;;#ASMSTART
	
             v_fmac_f32 v8, v68, v72 
             
	;;#ASMEND
	;;#ASMSTART
	
             v_fmac_f32 v9, v68, v73 
             
	;;#ASMEND
	;; [unrolled: 5-line block ×16, first 2 shown]
	s_waitcnt lgkmcnt(1)
	;;#ASMSTART
	
             v_fmac_f32 v28, v68, v76 
             
	;;#ASMEND
	;;#ASMSTART
	
             v_fmac_f32 v29, v68, v77 
             
	;;#ASMEND
	;; [unrolled: 5-line block ×16, first 2 shown]
	ds_load_b128 v[68:71], v66 offset:4096
	s_waitcnt lgkmcnt(1)
	;;#ASMSTART
	
             v_fmac_f32 v20, v80, v72 
             
	;;#ASMEND
	;;#ASMSTART
	
             v_fmac_f32 v21, v80, v73 
             
	;;#ASMEND
	;; [unrolled: 5-line block ×16, first 2 shown]
	ds_load_b128 v[72:75], v67 offset:20480
	;;#ASMSTART
	
             v_fmac_f32 v52, v80, v76 
             
	;;#ASMEND
	;;#ASMSTART
	
             v_fmac_f32 v53, v80, v77 
             
	;;#ASMEND
	;; [unrolled: 5-line block ×16, first 2 shown]
	ds_load_b128 v[76:79], v67 offset:20736
	ds_load_b128 v[80:83], v66 offset:4352
	s_waitcnt lgkmcnt(2)
	;;#ASMSTART
	
             v_fmac_f32 v8, v68, v72 
             
	;;#ASMEND
	;;#ASMSTART
	
             v_fmac_f32 v9, v68, v73 
             
	;;#ASMEND
	;; [unrolled: 5-line block ×16, first 2 shown]
	s_waitcnt lgkmcnt(1)
	;;#ASMSTART
	
             v_fmac_f32 v28, v68, v76 
             
	;;#ASMEND
	;;#ASMSTART
	
             v_fmac_f32 v29, v68, v77 
             
	;;#ASMEND
	;; [unrolled: 5-line block ×16, first 2 shown]
	ds_load_b128 v[68:71], v66 offset:4608
	s_waitcnt lgkmcnt(1)
	;;#ASMSTART
	
             v_fmac_f32 v20, v80, v72 
             
	;;#ASMEND
	;;#ASMSTART
	
             v_fmac_f32 v21, v80, v73 
             
	;;#ASMEND
	;; [unrolled: 5-line block ×16, first 2 shown]
	ds_load_b128 v[72:75], v67 offset:20992
	;;#ASMSTART
	
             v_fmac_f32 v52, v80, v76 
             
	;;#ASMEND
	;;#ASMSTART
	
             v_fmac_f32 v53, v80, v77 
             
	;;#ASMEND
	;;#ASMSTART
	
             v_fmac_f32 v54, v80, v78 
             
	;;#ASMEND
	;;#ASMSTART
	
             v_fmac_f32 v55, v80, v79 
             
	;;#ASMEND
	;;#ASMSTART
	
             v_fmac_f32 v56, v81, v76 
             
	;;#ASMEND
	;;#ASMSTART
	
             v_fmac_f32 v57, v81, v77 
             
	;;#ASMEND
	;;#ASMSTART
	
             v_fmac_f32 v58, v81, v78 
             
	;;#ASMEND
	;;#ASMSTART
	
             v_fmac_f32 v59, v81, v79 
             
	;;#ASMEND
	;;#ASMSTART
	
             v_fmac_f32 v60, v82, v76 
             
	;;#ASMEND
	;;#ASMSTART
	
             v_fmac_f32 v61, v82, v77 
             
	;;#ASMEND
	;;#ASMSTART
	
             v_fmac_f32 v62, v82, v78 
             
	;;#ASMEND
	;;#ASMSTART
	
             v_fmac_f32 v63, v82, v79 
             
	;;#ASMEND
	;;#ASMSTART
	
             v_fmac_f32 v0, v83, v76 
             
	;;#ASMEND
	;;#ASMSTART
	
             v_fmac_f32 v1, v83, v77 
             
	;;#ASMEND
	;;#ASMSTART
	
             v_fmac_f32 v2, v83, v78 
             
	;;#ASMEND
	;;#ASMSTART
	
             v_fmac_f32 v3, v83, v79 
             
	;;#ASMEND
	ds_load_b128 v[76:79], v67 offset:21248
	ds_load_b128 v[80:83], v66 offset:4864
	s_waitcnt lgkmcnt(2)
	;;#ASMSTART
	
             v_fmac_f32 v8, v68, v72 
             
	;;#ASMEND
	;;#ASMSTART
	
             v_fmac_f32 v9, v68, v73 
             
	;;#ASMEND
	;; [unrolled: 5-line block ×16, first 2 shown]
	s_waitcnt lgkmcnt(1)
	;;#ASMSTART
	
             v_fmac_f32 v28, v68, v76 
             
	;;#ASMEND
	;;#ASMSTART
	
             v_fmac_f32 v29, v68, v77 
             
	;;#ASMEND
	;; [unrolled: 5-line block ×16, first 2 shown]
	ds_load_b128 v[68:71], v66 offset:5120
	s_waitcnt lgkmcnt(1)
	;;#ASMSTART
	
             v_fmac_f32 v20, v80, v72 
             
	;;#ASMEND
	;;#ASMSTART
	
             v_fmac_f32 v21, v80, v73 
             
	;;#ASMEND
	;; [unrolled: 5-line block ×16, first 2 shown]
	ds_load_b128 v[72:75], v67 offset:21504
	;;#ASMSTART
	
             v_fmac_f32 v52, v80, v76 
             
	;;#ASMEND
	;;#ASMSTART
	
             v_fmac_f32 v53, v80, v77 
             
	;;#ASMEND
	;; [unrolled: 5-line block ×16, first 2 shown]
	ds_load_b128 v[76:79], v67 offset:21760
	ds_load_b128 v[80:83], v66 offset:5376
	s_waitcnt lgkmcnt(2)
	;;#ASMSTART
	
             v_fmac_f32 v8, v68, v72 
             
	;;#ASMEND
	;;#ASMSTART
	
             v_fmac_f32 v9, v68, v73 
             
	;;#ASMEND
	;; [unrolled: 5-line block ×16, first 2 shown]
	s_waitcnt lgkmcnt(1)
	;;#ASMSTART
	
             v_fmac_f32 v28, v68, v76 
             
	;;#ASMEND
	;;#ASMSTART
	
             v_fmac_f32 v29, v68, v77 
             
	;;#ASMEND
	;; [unrolled: 5-line block ×16, first 2 shown]
	ds_load_b128 v[68:71], v66 offset:5632
	s_waitcnt lgkmcnt(1)
	;;#ASMSTART
	
             v_fmac_f32 v20, v80, v72 
             
	;;#ASMEND
	;;#ASMSTART
	
             v_fmac_f32 v21, v80, v73 
             
	;;#ASMEND
	;; [unrolled: 5-line block ×16, first 2 shown]
	ds_load_b128 v[72:75], v67 offset:22016
	;;#ASMSTART
	
             v_fmac_f32 v52, v80, v76 
             
	;;#ASMEND
	;;#ASMSTART
	
             v_fmac_f32 v53, v80, v77 
             
	;;#ASMEND
	;; [unrolled: 5-line block ×16, first 2 shown]
	ds_load_b128 v[76:79], v67 offset:22272
	ds_load_b128 v[80:83], v66 offset:5888
	s_waitcnt lgkmcnt(2)
	;;#ASMSTART
	
             v_fmac_f32 v8, v68, v72 
             
	;;#ASMEND
	;;#ASMSTART
	
             v_fmac_f32 v9, v68, v73 
             
	;;#ASMEND
	;; [unrolled: 5-line block ×16, first 2 shown]
	s_waitcnt lgkmcnt(1)
	;;#ASMSTART
	
             v_fmac_f32 v28, v68, v76 
             
	;;#ASMEND
	;;#ASMSTART
	
             v_fmac_f32 v29, v68, v77 
             
	;;#ASMEND
	;; [unrolled: 5-line block ×16, first 2 shown]
	ds_load_b128 v[68:71], v66 offset:6144
	s_waitcnt lgkmcnt(1)
	;;#ASMSTART
	
             v_fmac_f32 v20, v80, v72 
             
	;;#ASMEND
	;;#ASMSTART
	
             v_fmac_f32 v21, v80, v73 
             
	;;#ASMEND
	;; [unrolled: 5-line block ×16, first 2 shown]
	ds_load_b128 v[72:75], v67 offset:22528
	;;#ASMSTART
	
             v_fmac_f32 v52, v80, v76 
             
	;;#ASMEND
	;;#ASMSTART
	
             v_fmac_f32 v53, v80, v77 
             
	;;#ASMEND
	;;#ASMSTART
	
             v_fmac_f32 v54, v80, v78 
             
	;;#ASMEND
	;;#ASMSTART
	
             v_fmac_f32 v55, v80, v79 
             
	;;#ASMEND
	;;#ASMSTART
	
             v_fmac_f32 v56, v81, v76 
             
	;;#ASMEND
	;;#ASMSTART
	
             v_fmac_f32 v57, v81, v77 
             
	;;#ASMEND
	;;#ASMSTART
	
             v_fmac_f32 v58, v81, v78 
             
	;;#ASMEND
	;;#ASMSTART
	
             v_fmac_f32 v59, v81, v79 
             
	;;#ASMEND
	;;#ASMSTART
	
             v_fmac_f32 v60, v82, v76 
             
	;;#ASMEND
	;;#ASMSTART
	
             v_fmac_f32 v61, v82, v77 
             
	;;#ASMEND
	;;#ASMSTART
	
             v_fmac_f32 v62, v82, v78 
             
	;;#ASMEND
	;;#ASMSTART
	
             v_fmac_f32 v63, v82, v79 
             
	;;#ASMEND
	;;#ASMSTART
	
             v_fmac_f32 v0, v83, v76 
             
	;;#ASMEND
	;;#ASMSTART
	
             v_fmac_f32 v1, v83, v77 
             
	;;#ASMEND
	;;#ASMSTART
	
             v_fmac_f32 v2, v83, v78 
             
	;;#ASMEND
	;;#ASMSTART
	
             v_fmac_f32 v3, v83, v79 
             
	;;#ASMEND
	ds_load_b128 v[76:79], v67 offset:22784
	ds_load_b128 v[80:83], v66 offset:6400
	s_waitcnt lgkmcnt(2)
	;;#ASMSTART
	
             v_fmac_f32 v8, v68, v72 
             
	;;#ASMEND
	;;#ASMSTART
	
             v_fmac_f32 v9, v68, v73 
             
	;;#ASMEND
	;; [unrolled: 5-line block ×16, first 2 shown]
	s_waitcnt lgkmcnt(1)
	;;#ASMSTART
	
             v_fmac_f32 v28, v68, v76 
             
	;;#ASMEND
	;;#ASMSTART
	
             v_fmac_f32 v29, v68, v77 
             
	;;#ASMEND
	;; [unrolled: 5-line block ×16, first 2 shown]
	ds_load_b128 v[68:71], v66 offset:6656
	s_waitcnt lgkmcnt(1)
	;;#ASMSTART
	
             v_fmac_f32 v20, v80, v72 
             
	;;#ASMEND
	;;#ASMSTART
	
             v_fmac_f32 v21, v80, v73 
             
	;;#ASMEND
	;; [unrolled: 5-line block ×16, first 2 shown]
	ds_load_b128 v[72:75], v67 offset:23040
	;;#ASMSTART
	
             v_fmac_f32 v52, v80, v76 
             
	;;#ASMEND
	;;#ASMSTART
	
             v_fmac_f32 v53, v80, v77 
             
	;;#ASMEND
	;; [unrolled: 5-line block ×16, first 2 shown]
	ds_load_b128 v[76:79], v67 offset:23296
	ds_load_b128 v[80:83], v66 offset:6912
	s_waitcnt lgkmcnt(2)
	;;#ASMSTART
	
             v_fmac_f32 v8, v68, v72 
             
	;;#ASMEND
	;;#ASMSTART
	
             v_fmac_f32 v9, v68, v73 
             
	;;#ASMEND
	;; [unrolled: 5-line block ×16, first 2 shown]
	s_waitcnt lgkmcnt(1)
	;;#ASMSTART
	
             v_fmac_f32 v28, v68, v76 
             
	;;#ASMEND
	;;#ASMSTART
	
             v_fmac_f32 v29, v68, v77 
             
	;;#ASMEND
	;; [unrolled: 5-line block ×16, first 2 shown]
	ds_load_b128 v[68:71], v66 offset:7168
	s_waitcnt lgkmcnt(1)
	;;#ASMSTART
	
             v_fmac_f32 v20, v80, v72 
             
	;;#ASMEND
	;;#ASMSTART
	
             v_fmac_f32 v21, v80, v73 
             
	;;#ASMEND
	;; [unrolled: 5-line block ×16, first 2 shown]
	ds_load_b128 v[72:75], v67 offset:23552
	;;#ASMSTART
	
             v_fmac_f32 v52, v80, v76 
             
	;;#ASMEND
	;;#ASMSTART
	
             v_fmac_f32 v53, v80, v77 
             
	;;#ASMEND
	;; [unrolled: 5-line block ×16, first 2 shown]
	ds_load_b128 v[76:79], v67 offset:23808
	ds_load_b128 v[80:83], v66 offset:7424
	v_mul_lo_u32 v65, v65, s12
	s_waitcnt lgkmcnt(2)
	;;#ASMSTART
	
             v_fmac_f32 v8, v68, v72 
             
	;;#ASMEND
	;;#ASMSTART
	
             v_fmac_f32 v9, v68, v73 
             
	;;#ASMEND
	;; [unrolled: 5-line block ×7, first 2 shown]
	v_add3_u32 v64, s7, v64, v65
	;;#ASMSTART
	
             v_fmac_f32 v7, v69, v75 
             
	;;#ASMEND
	;;#ASMSTART
	
             v_fmac_f32 v16, v70, v72 
             
	;;#ASMEND
	;; [unrolled: 5-line block ×9, first 2 shown]
	s_waitcnt lgkmcnt(1)
	;;#ASMSTART
	
             v_fmac_f32 v28, v68, v76 
             
	;;#ASMEND
	;;#ASMSTART
	
             v_fmac_f32 v29, v68, v77 
             
	;;#ASMEND
	;; [unrolled: 5-line block ×16, first 2 shown]
	ds_load_b128 v[68:71], v66 offset:7680
	s_waitcnt lgkmcnt(1)
	;;#ASMSTART
	
             v_fmac_f32 v20, v80, v72 
             
	;;#ASMEND
	;;#ASMSTART
	
             v_fmac_f32 v21, v80, v73 
             
	;;#ASMEND
	;;#ASMSTART
	
             v_fmac_f32 v22, v80, v74 
             
	;;#ASMEND
	;;#ASMSTART
	
             v_fmac_f32 v23, v80, v75 
             
	;;#ASMEND
	;;#ASMSTART
	
             v_fmac_f32 v40, v81, v72 
             
	;;#ASMEND
	;;#ASMSTART
	
             v_fmac_f32 v41, v81, v73 
             
	;;#ASMEND
	;;#ASMSTART
	
             v_fmac_f32 v42, v81, v74 
             
	;;#ASMEND
	;;#ASMSTART
	
             v_fmac_f32 v43, v81, v75 
             
	;;#ASMEND
	;;#ASMSTART
	
             v_fmac_f32 v44, v82, v72 
             
	;;#ASMEND
	;;#ASMSTART
	
             v_fmac_f32 v45, v82, v73 
             
	;;#ASMEND
	;;#ASMSTART
	
             v_fmac_f32 v46, v82, v74 
             
	;;#ASMEND
	;;#ASMSTART
	
             v_fmac_f32 v47, v82, v75 
             
	;;#ASMEND
	;;#ASMSTART
	
             v_fmac_f32 v48, v83, v72 
             
	;;#ASMEND
	;;#ASMSTART
	
             v_fmac_f32 v49, v83, v73 
             
	;;#ASMEND
	;;#ASMSTART
	
             v_fmac_f32 v50, v83, v74 
             
	;;#ASMEND
	;;#ASMSTART
	
             v_fmac_f32 v51, v83, v75 
             
	;;#ASMEND
	ds_load_b128 v[72:75], v67 offset:24064
	;;#ASMSTART
	
             v_fmac_f32 v52, v80, v76 
             
	;;#ASMEND
	;;#ASMSTART
	
             v_fmac_f32 v53, v80, v77 
             
	;;#ASMEND
	;; [unrolled: 5-line block ×16, first 2 shown]
	ds_load_b128 v[76:79], v67 offset:24320
	ds_load_b128 v[80:83], v66 offset:7936
	v_add_nc_u32_e32 v65, s12, v64
	s_waitcnt lgkmcnt(2)
	;;#ASMSTART
	
             v_fmac_f32 v8, v68, v72 
             
	;;#ASMEND
	;;#ASMSTART
	
             v_fmac_f32 v9, v68, v73 
             
	;;#ASMEND
	;;#ASMSTART
	
             v_fmac_f32 v10, v68, v74 
             
	;;#ASMEND
	;;#ASMSTART
	
             v_fmac_f32 v11, v68, v75 
             
	;;#ASMEND
	v_add_nc_u32_e32 v66, s12, v65
	;;#ASMSTART
	
             v_fmac_f32 v4, v69, v72 
             
	;;#ASMEND
	;;#ASMSTART
	
             v_fmac_f32 v5, v69, v73 
             
	;;#ASMEND
	;; [unrolled: 5-line block ×4, first 2 shown]
	v_add_nc_u32_e32 v67, s12, v66
	;;#ASMSTART
	
             v_fmac_f32 v16, v70, v72 
             
	;;#ASMEND
	;;#ASMSTART
	
             v_fmac_f32 v17, v70, v73 
             
	;;#ASMEND
	;; [unrolled: 5-line block ×8, first 2 shown]
	s_waitcnt lgkmcnt(1)
	;;#ASMSTART
	
             v_fmac_f32 v28, v68, v76 
             
	;;#ASMEND
	;;#ASMSTART
	
             v_fmac_f32 v29, v68, v77 
             
	;;#ASMEND
	;; [unrolled: 5-line block ×4, first 2 shown]
	v_lshl_add_u32 v68, s12, 6, v67
	;;#ASMSTART
	
             v_fmac_f32 v24, v69, v76 
             
	;;#ASMEND
	;;#ASMSTART
	
             v_fmac_f32 v25, v69, v77 
             
	;;#ASMEND
	;;#ASMSTART
	
             v_fmac_f32 v26, v69, v78 
             
	;;#ASMEND
	;;#ASMSTART
	
             v_fmac_f32 v27, v69, v79 
             
	;;#ASMEND
	;;#ASMSTART
	
             v_fmac_f32 v36, v70, v76 
             
	;;#ASMEND
	;;#ASMSTART
	
             v_fmac_f32 v37, v70, v77 
             
	;;#ASMEND
	;;#ASMSTART
	
             v_fmac_f32 v38, v70, v78 
             
	;;#ASMEND
	;;#ASMSTART
	
             v_fmac_f32 v39, v70, v79 
             
	;;#ASMEND
	v_add_nc_u32_e32 v70, 64, v68
	v_add_nc_u32_e32 v69, 64, v64
	;;#ASMSTART
	
             v_fmac_f32 v32, v71, v76 
             
	;;#ASMEND
	;;#ASMSTART
	
             v_fmac_f32 v33, v71, v77 
             
	;;#ASMEND
	;; [unrolled: 5-line block ×4, first 2 shown]
	s_waitcnt lgkmcnt(0)
	;;#ASMSTART
	
             v_fmac_f32 v20, v80, v72 
             
	;;#ASMEND
	;;#ASMSTART
	
             v_fmac_f32 v21, v80, v73 
             
	;;#ASMEND
	;; [unrolled: 5-line block ×13, first 2 shown]
	v_lshlrev_b32_e32 v64, 2, v64
	v_subrev_nc_u32_e32 v72, s12, v70
	v_lshlrev_b32_e32 v71, 2, v69
	s_mov_b32 s7, s3
	;;#ASMSTART
	
             v_fmac_f32 v49, v83, v73 
             
	;;#ASMEND
	;;#ASMSTART
	
             v_fmac_f32 v50, v83, v74 
             
	;;#ASMEND
	;; [unrolled: 5-line block ×19, first 2 shown]
	s_clause 0x1
	buffer_store_b128 v[8:11], v64, s[4:7], 0 offen
	buffer_store_b128 v[28:31], v71, s[4:7], 0 offen
	v_add_lshl_u32 v9, v69, s12, 2
	v_subrev_nc_u32_e32 v10, 64, v72
	v_add_nc_u32_e32 v8, 64, v66
	v_lshlrev_b32_e32 v11, 2, v65
	v_lshlrev_b32_e32 v28, 2, v66
	buffer_store_b128 v[24:27], v9, s[4:7], 0 offen
	v_subrev_nc_u32_e32 v9, s12, v10
	v_lshlrev_b32_e32 v29, 2, v8
	s_clause 0x2
	buffer_store_b128 v[4:7], v11, s[4:7], 0 offen
	buffer_store_b128 v[16:19], v28, s[4:7], 0 offen
	;; [unrolled: 1-line block ×3, first 2 shown]
	v_add_lshl_u32 v4, v8, s12, 2
	v_add_nc_u32_e32 v5, 64, v9
	v_lshlrev_b32_e32 v6, 2, v67
	v_lshlrev_b32_e32 v7, 2, v68
	;; [unrolled: 1-line block ×3, first 2 shown]
	buffer_store_b128 v[32:35], v4, s[4:7], 0 offen
	v_subrev_nc_u32_e32 v4, s12, v5
	s_clause 0x2
	buffer_store_b128 v[12:15], v6, s[4:7], 0 offen
	buffer_store_b128 v[48:51], v7, s[4:7], 0 offen
	;; [unrolled: 1-line block ×3, first 2 shown]
	v_lshlrev_b32_e32 v0, 2, v72
	v_lshlrev_b32_e32 v2, 2, v10
	;; [unrolled: 1-line block ×5, first 2 shown]
	buffer_store_b128 v[60:63], v0, s[4:7], 0 offen
	v_add_nc_u32_e32 v0, 0xffffff00, v1
	s_clause 0x4
	buffer_store_b128 v[44:47], v2, s[4:7], 0 offen
	buffer_store_b128 v[40:43], v3, s[4:7], 0 offen
	;; [unrolled: 1-line block ×5, first 2 shown]
	s_nop 0
	s_sendmsg sendmsg(MSG_DEALLOC_VGPRS)
	s_endpgm
	.section	.rodata,"a",@progbits
	.p2align	6, 0x0
	.amdhsa_kernel _ZN2ck19kernel_gemm_dl_v1r3INS_28GridwiseGemmDl_km_kn_mn_v1r3ILi256EfffLNS_25InMemoryDataOperationEnumE0ENS_16TensorDescriptorINS_5TupleIJNS_5EmbedINS4_IJiiEEENS4_IJNS_17integral_constantIiLi1EEEiEEELb0EEENS_7UnMergeINS4_IJiS8_EEELb0EEENS_11PassThroughIiEEEEENS4_IJNS_8SequenceIJLi0EEEENSH_IJLi2EEEENSH_IJLi1EEEEEEENS4_IJNSH_IJLi1ELi2EEEENSH_IJLi3ELi4EEEENSH_IJLi5EEEEEEENSH_IJLi3ELi5ELi4EEEElEENS3_INS4_IJNS5_IS6_SC_Lb0EEESD_SF_EEENS4_IJSI_SK_SJ_EEESP_SQ_lEENS3_INS4_IJSS_SF_SF_EEESU_NS4_IJSM_NSH_IJLi3EEEENSH_IJLi4EEEEEEESN_lEELi128ELi128ELi16ELi1ELi4ELi4ELi1ENSH_IJLi8ELi2EEEES11_NSH_IJLi2ELi1ELi4ELi1EEEENSH_IJLi8ELi1ELi32ELi1EEEENSH_IJLi0ELi3ELi1ELi2EEEES14_NSH_IJLi1ELi1ELi4ELi1EEEES14_S15_S12_S13_S14_S14_S15_S14_S15_NSH_IJLi0ELi1ELi2ELi3ELi4ELi5EEEELi5ELi4EEEffNS3_INS4_IJSA_SD_SF_SF_NSB_INS4_IJiNS7_IiLi128EEEEEELb0EEENSE_IS8_EEEEENS4_IJSI_SJ_SK_SX_SO_SY_EEENS4_IJSM_SN_SO_NSH_IJLi6EEEENSH_IJLi7ELi8EEEENSH_IJLi9EEEEEEENSH_IJLi6ELi7ELi8ELi9EEEElEENS3_INS4_IJSS_SD_SF_SF_S1A_S1B_EEENS4_IJSI_SK_SJ_SX_SO_SY_EEES1H_S1I_lEENS3_INS4_IJSS_SF_SF_NSB_INS4_IJiNS7_IiLi2EEENS7_IiLi64EEEEEELb0EEES1Q_EEENS4_IJSI_SK_SJ_SX_SY_EEENS4_IJSM_SX_SY_NSH_IJLi5ELi6ELi7EEEENSH_IJLi8ELi9ELi10EEEEEEENSH_IJLi5ELi6ELi7ELi8ELi9ELi10EEEElEENS_31BlockToCTileMap_M00_N00_M01_N01ILi128ELi128ES10_Lb0EEELb0ELb0EEEvPKT0_S22_PT1_T2_T3_T4_T5_
		.amdhsa_group_segment_fixed_size 32768
		.amdhsa_private_segment_fixed_size 0
		.amdhsa_kernarg_size 328
		.amdhsa_user_sgpr_count 15
		.amdhsa_user_sgpr_dispatch_ptr 0
		.amdhsa_user_sgpr_queue_ptr 0
		.amdhsa_user_sgpr_kernarg_segment_ptr 1
		.amdhsa_user_sgpr_dispatch_id 0
		.amdhsa_user_sgpr_private_segment_size 0
		.amdhsa_wavefront_size32 1
		.amdhsa_uses_dynamic_stack 0
		.amdhsa_enable_private_segment 0
		.amdhsa_system_sgpr_workgroup_id_x 1
		.amdhsa_system_sgpr_workgroup_id_y 0
		.amdhsa_system_sgpr_workgroup_id_z 0
		.amdhsa_system_sgpr_workgroup_info 0
		.amdhsa_system_vgpr_workitem_id 0
		.amdhsa_next_free_vgpr 84
		.amdhsa_next_free_sgpr 28
		.amdhsa_reserve_vcc 0
		.amdhsa_float_round_mode_32 0
		.amdhsa_float_round_mode_16_64 0
		.amdhsa_float_denorm_mode_32 3
		.amdhsa_float_denorm_mode_16_64 3
		.amdhsa_dx10_clamp 1
		.amdhsa_ieee_mode 1
		.amdhsa_fp16_overflow 0
		.amdhsa_workgroup_processor_mode 1
		.amdhsa_memory_ordered 1
		.amdhsa_forward_progress 0
		.amdhsa_shared_vgpr_count 0
		.amdhsa_exception_fp_ieee_invalid_op 0
		.amdhsa_exception_fp_denorm_src 0
		.amdhsa_exception_fp_ieee_div_zero 0
		.amdhsa_exception_fp_ieee_overflow 0
		.amdhsa_exception_fp_ieee_underflow 0
		.amdhsa_exception_fp_ieee_inexact 0
		.amdhsa_exception_int_div_zero 0
	.end_amdhsa_kernel
	.section	.text._ZN2ck19kernel_gemm_dl_v1r3INS_28GridwiseGemmDl_km_kn_mn_v1r3ILi256EfffLNS_25InMemoryDataOperationEnumE0ENS_16TensorDescriptorINS_5TupleIJNS_5EmbedINS4_IJiiEEENS4_IJNS_17integral_constantIiLi1EEEiEEELb0EEENS_7UnMergeINS4_IJiS8_EEELb0EEENS_11PassThroughIiEEEEENS4_IJNS_8SequenceIJLi0EEEENSH_IJLi2EEEENSH_IJLi1EEEEEEENS4_IJNSH_IJLi1ELi2EEEENSH_IJLi3ELi4EEEENSH_IJLi5EEEEEEENSH_IJLi3ELi5ELi4EEEElEENS3_INS4_IJNS5_IS6_SC_Lb0EEESD_SF_EEENS4_IJSI_SK_SJ_EEESP_SQ_lEENS3_INS4_IJSS_SF_SF_EEESU_NS4_IJSM_NSH_IJLi3EEEENSH_IJLi4EEEEEEESN_lEELi128ELi128ELi16ELi1ELi4ELi4ELi1ENSH_IJLi8ELi2EEEES11_NSH_IJLi2ELi1ELi4ELi1EEEENSH_IJLi8ELi1ELi32ELi1EEEENSH_IJLi0ELi3ELi1ELi2EEEES14_NSH_IJLi1ELi1ELi4ELi1EEEES14_S15_S12_S13_S14_S14_S15_S14_S15_NSH_IJLi0ELi1ELi2ELi3ELi4ELi5EEEELi5ELi4EEEffNS3_INS4_IJSA_SD_SF_SF_NSB_INS4_IJiNS7_IiLi128EEEEEELb0EEENSE_IS8_EEEEENS4_IJSI_SJ_SK_SX_SO_SY_EEENS4_IJSM_SN_SO_NSH_IJLi6EEEENSH_IJLi7ELi8EEEENSH_IJLi9EEEEEEENSH_IJLi6ELi7ELi8ELi9EEEElEENS3_INS4_IJSS_SD_SF_SF_S1A_S1B_EEENS4_IJSI_SK_SJ_SX_SO_SY_EEES1H_S1I_lEENS3_INS4_IJSS_SF_SF_NSB_INS4_IJiNS7_IiLi2EEENS7_IiLi64EEEEEELb0EEES1Q_EEENS4_IJSI_SK_SJ_SX_SY_EEENS4_IJSM_SX_SY_NSH_IJLi5ELi6ELi7EEEENSH_IJLi8ELi9ELi10EEEEEEENSH_IJLi5ELi6ELi7ELi8ELi9ELi10EEEElEENS_31BlockToCTileMap_M00_N00_M01_N01ILi128ELi128ES10_Lb0EEELb0ELb0EEEvPKT0_S22_PT1_T2_T3_T4_T5_,"axG",@progbits,_ZN2ck19kernel_gemm_dl_v1r3INS_28GridwiseGemmDl_km_kn_mn_v1r3ILi256EfffLNS_25InMemoryDataOperationEnumE0ENS_16TensorDescriptorINS_5TupleIJNS_5EmbedINS4_IJiiEEENS4_IJNS_17integral_constantIiLi1EEEiEEELb0EEENS_7UnMergeINS4_IJiS8_EEELb0EEENS_11PassThroughIiEEEEENS4_IJNS_8SequenceIJLi0EEEENSH_IJLi2EEEENSH_IJLi1EEEEEEENS4_IJNSH_IJLi1ELi2EEEENSH_IJLi3ELi4EEEENSH_IJLi5EEEEEEENSH_IJLi3ELi5ELi4EEEElEENS3_INS4_IJNS5_IS6_SC_Lb0EEESD_SF_EEENS4_IJSI_SK_SJ_EEESP_SQ_lEENS3_INS4_IJSS_SF_SF_EEESU_NS4_IJSM_NSH_IJLi3EEEENSH_IJLi4EEEEEEESN_lEELi128ELi128ELi16ELi1ELi4ELi4ELi1ENSH_IJLi8ELi2EEEES11_NSH_IJLi2ELi1ELi4ELi1EEEENSH_IJLi8ELi1ELi32ELi1EEEENSH_IJLi0ELi3ELi1ELi2EEEES14_NSH_IJLi1ELi1ELi4ELi1EEEES14_S15_S12_S13_S14_S14_S15_S14_S15_NSH_IJLi0ELi1ELi2ELi3ELi4ELi5EEEELi5ELi4EEEffNS3_INS4_IJSA_SD_SF_SF_NSB_INS4_IJiNS7_IiLi128EEEEEELb0EEENSE_IS8_EEEEENS4_IJSI_SJ_SK_SX_SO_SY_EEENS4_IJSM_SN_SO_NSH_IJLi6EEEENSH_IJLi7ELi8EEEENSH_IJLi9EEEEEEENSH_IJLi6ELi7ELi8ELi9EEEElEENS3_INS4_IJSS_SD_SF_SF_S1A_S1B_EEENS4_IJSI_SK_SJ_SX_SO_SY_EEES1H_S1I_lEENS3_INS4_IJSS_SF_SF_NSB_INS4_IJiNS7_IiLi2EEENS7_IiLi64EEEEEELb0EEES1Q_EEENS4_IJSI_SK_SJ_SX_SY_EEENS4_IJSM_SX_SY_NSH_IJLi5ELi6ELi7EEEENSH_IJLi8ELi9ELi10EEEEEEENSH_IJLi5ELi6ELi7ELi8ELi9ELi10EEEElEENS_31BlockToCTileMap_M00_N00_M01_N01ILi128ELi128ES10_Lb0EEELb0ELb0EEEvPKT0_S22_PT1_T2_T3_T4_T5_,comdat
.Lfunc_end6:
	.size	_ZN2ck19kernel_gemm_dl_v1r3INS_28GridwiseGemmDl_km_kn_mn_v1r3ILi256EfffLNS_25InMemoryDataOperationEnumE0ENS_16TensorDescriptorINS_5TupleIJNS_5EmbedINS4_IJiiEEENS4_IJNS_17integral_constantIiLi1EEEiEEELb0EEENS_7UnMergeINS4_IJiS8_EEELb0EEENS_11PassThroughIiEEEEENS4_IJNS_8SequenceIJLi0EEEENSH_IJLi2EEEENSH_IJLi1EEEEEEENS4_IJNSH_IJLi1ELi2EEEENSH_IJLi3ELi4EEEENSH_IJLi5EEEEEEENSH_IJLi3ELi5ELi4EEEElEENS3_INS4_IJNS5_IS6_SC_Lb0EEESD_SF_EEENS4_IJSI_SK_SJ_EEESP_SQ_lEENS3_INS4_IJSS_SF_SF_EEESU_NS4_IJSM_NSH_IJLi3EEEENSH_IJLi4EEEEEEESN_lEELi128ELi128ELi16ELi1ELi4ELi4ELi1ENSH_IJLi8ELi2EEEES11_NSH_IJLi2ELi1ELi4ELi1EEEENSH_IJLi8ELi1ELi32ELi1EEEENSH_IJLi0ELi3ELi1ELi2EEEES14_NSH_IJLi1ELi1ELi4ELi1EEEES14_S15_S12_S13_S14_S14_S15_S14_S15_NSH_IJLi0ELi1ELi2ELi3ELi4ELi5EEEELi5ELi4EEEffNS3_INS4_IJSA_SD_SF_SF_NSB_INS4_IJiNS7_IiLi128EEEEEELb0EEENSE_IS8_EEEEENS4_IJSI_SJ_SK_SX_SO_SY_EEENS4_IJSM_SN_SO_NSH_IJLi6EEEENSH_IJLi7ELi8EEEENSH_IJLi9EEEEEEENSH_IJLi6ELi7ELi8ELi9EEEElEENS3_INS4_IJSS_SD_SF_SF_S1A_S1B_EEENS4_IJSI_SK_SJ_SX_SO_SY_EEES1H_S1I_lEENS3_INS4_IJSS_SF_SF_NSB_INS4_IJiNS7_IiLi2EEENS7_IiLi64EEEEEELb0EEES1Q_EEENS4_IJSI_SK_SJ_SX_SY_EEENS4_IJSM_SX_SY_NSH_IJLi5ELi6ELi7EEEENSH_IJLi8ELi9ELi10EEEEEEENSH_IJLi5ELi6ELi7ELi8ELi9ELi10EEEElEENS_31BlockToCTileMap_M00_N00_M01_N01ILi128ELi128ES10_Lb0EEELb0ELb0EEEvPKT0_S22_PT1_T2_T3_T4_T5_, .Lfunc_end6-_ZN2ck19kernel_gemm_dl_v1r3INS_28GridwiseGemmDl_km_kn_mn_v1r3ILi256EfffLNS_25InMemoryDataOperationEnumE0ENS_16TensorDescriptorINS_5TupleIJNS_5EmbedINS4_IJiiEEENS4_IJNS_17integral_constantIiLi1EEEiEEELb0EEENS_7UnMergeINS4_IJiS8_EEELb0EEENS_11PassThroughIiEEEEENS4_IJNS_8SequenceIJLi0EEEENSH_IJLi2EEEENSH_IJLi1EEEEEEENS4_IJNSH_IJLi1ELi2EEEENSH_IJLi3ELi4EEEENSH_IJLi5EEEEEEENSH_IJLi3ELi5ELi4EEEElEENS3_INS4_IJNS5_IS6_SC_Lb0EEESD_SF_EEENS4_IJSI_SK_SJ_EEESP_SQ_lEENS3_INS4_IJSS_SF_SF_EEESU_NS4_IJSM_NSH_IJLi3EEEENSH_IJLi4EEEEEEESN_lEELi128ELi128ELi16ELi1ELi4ELi4ELi1ENSH_IJLi8ELi2EEEES11_NSH_IJLi2ELi1ELi4ELi1EEEENSH_IJLi8ELi1ELi32ELi1EEEENSH_IJLi0ELi3ELi1ELi2EEEES14_NSH_IJLi1ELi1ELi4ELi1EEEES14_S15_S12_S13_S14_S14_S15_S14_S15_NSH_IJLi0ELi1ELi2ELi3ELi4ELi5EEEELi5ELi4EEEffNS3_INS4_IJSA_SD_SF_SF_NSB_INS4_IJiNS7_IiLi128EEEEEELb0EEENSE_IS8_EEEEENS4_IJSI_SJ_SK_SX_SO_SY_EEENS4_IJSM_SN_SO_NSH_IJLi6EEEENSH_IJLi7ELi8EEEENSH_IJLi9EEEEEEENSH_IJLi6ELi7ELi8ELi9EEEElEENS3_INS4_IJSS_SD_SF_SF_S1A_S1B_EEENS4_IJSI_SK_SJ_SX_SO_SY_EEES1H_S1I_lEENS3_INS4_IJSS_SF_SF_NSB_INS4_IJiNS7_IiLi2EEENS7_IiLi64EEEEEELb0EEES1Q_EEENS4_IJSI_SK_SJ_SX_SY_EEENS4_IJSM_SX_SY_NSH_IJLi5ELi6ELi7EEEENSH_IJLi8ELi9ELi10EEEEEEENSH_IJLi5ELi6ELi7ELi8ELi9ELi10EEEElEENS_31BlockToCTileMap_M00_N00_M01_N01ILi128ELi128ES10_Lb0EEELb0ELb0EEEvPKT0_S22_PT1_T2_T3_T4_T5_
                                        ; -- End function
	.section	.AMDGPU.csdata,"",@progbits
; Kernel info:
; codeLenInByte = 22284
; NumSgprs: 28
; NumVgprs: 84
; ScratchSize: 0
; MemoryBound: 0
; FloatMode: 240
; IeeeMode: 1
; LDSByteSize: 32768 bytes/workgroup (compile time only)
; SGPRBlocks: 3
; VGPRBlocks: 10
; NumSGPRsForWavesPerEU: 28
; NumVGPRsForWavesPerEU: 84
; Occupancy: 8
; WaveLimiterHint : 0
; COMPUTE_PGM_RSRC2:SCRATCH_EN: 0
; COMPUTE_PGM_RSRC2:USER_SGPR: 15
; COMPUTE_PGM_RSRC2:TRAP_HANDLER: 0
; COMPUTE_PGM_RSRC2:TGID_X_EN: 1
; COMPUTE_PGM_RSRC2:TGID_Y_EN: 0
; COMPUTE_PGM_RSRC2:TGID_Z_EN: 0
; COMPUTE_PGM_RSRC2:TIDIG_COMP_CNT: 0
	.section	.text._ZN2ck17naive_gemm_kernelINS_13tensor_layout4gemm11ColumnMajorENS2_8RowMajorES4_ffffNS_16tensor_operation12element_wise11PassThroughES7_S7_ffEEvPKT2_PKT3_PT4_iiiT6_T7_T8_,"axG",@progbits,_ZN2ck17naive_gemm_kernelINS_13tensor_layout4gemm11ColumnMajorENS2_8RowMajorES4_ffffNS_16tensor_operation12element_wise11PassThroughES7_S7_ffEEvPKT2_PKT3_PT4_iiiT6_T7_T8_,comdat
	.protected	_ZN2ck17naive_gemm_kernelINS_13tensor_layout4gemm11ColumnMajorENS2_8RowMajorES4_ffffNS_16tensor_operation12element_wise11PassThroughES7_S7_ffEEvPKT2_PKT3_PT4_iiiT6_T7_T8_ ; -- Begin function _ZN2ck17naive_gemm_kernelINS_13tensor_layout4gemm11ColumnMajorENS2_8RowMajorES4_ffffNS_16tensor_operation12element_wise11PassThroughES7_S7_ffEEvPKT2_PKT3_PT4_iiiT6_T7_T8_
	.globl	_ZN2ck17naive_gemm_kernelINS_13tensor_layout4gemm11ColumnMajorENS2_8RowMajorES4_ffffNS_16tensor_operation12element_wise11PassThroughES7_S7_ffEEvPKT2_PKT3_PT4_iiiT6_T7_T8_
	.p2align	8
	.type	_ZN2ck17naive_gemm_kernelINS_13tensor_layout4gemm11ColumnMajorENS2_8RowMajorES4_ffffNS_16tensor_operation12element_wise11PassThroughES7_S7_ffEEvPKT2_PKT3_PT4_iiiT6_T7_T8_,@function
_ZN2ck17naive_gemm_kernelINS_13tensor_layout4gemm11ColumnMajorENS2_8RowMajorES4_ffffNS_16tensor_operation12element_wise11PassThroughES7_S7_ffEEvPKT2_PKT3_PT4_iiiT6_T7_T8_: ; @_ZN2ck17naive_gemm_kernelINS_13tensor_layout4gemm11ColumnMajorENS2_8RowMajorES4_ffffNS_16tensor_operation12element_wise11PassThroughES7_S7_ffEEvPKT2_PKT3_PT4_iiiT6_T7_T8_
; %bb.0:
	s_clause 0x1
	s_load_b32 s2, s[0:1], 0x34
	s_load_b128 s[4:7], s[0:1], 0x18
	v_and_b32_e32 v2, 0x3ff, v0
	v_bfe_u32 v3, v0, 10, 10
	s_waitcnt lgkmcnt(0)
	s_lshr_b32 s3, s2, 16
	s_and_b32 s2, s2, 0xffff
	s_delay_alu instid0(VALU_DEP_1) | instid1(SALU_CYCLE_1)
	v_mad_u64_u32 v[0:1], null, s14, s2, v[2:3]
	v_mad_u64_u32 v[1:2], null, s15, s3, v[3:4]
	s_delay_alu instid0(VALU_DEP_2) | instskip(NEXT) | instid1(VALU_DEP_2)
	v_cmp_gt_i32_e32 vcc_lo, s4, v0
	v_cmp_gt_i32_e64 s2, s5, v1
	s_delay_alu instid0(VALU_DEP_1) | instskip(NEXT) | instid1(SALU_CYCLE_1)
	s_and_b32 s2, vcc_lo, s2
	s_and_saveexec_b32 s3, s2
	s_cbranch_execz .LBB7_6
; %bb.1:
	s_load_b64 s[8:9], s[0:1], 0x10
	s_cmp_lt_i32 s6, 1
	s_cbranch_scc1 .LBB7_4
; %bb.2:
	s_load_b128 s[0:3], s[0:1], 0x0
	v_mov_b32_e32 v6, 0
	v_mov_b32_e32 v2, v0
	;; [unrolled: 1-line block ×3, first 2 shown]
	.p2align	6
.LBB7_3:                                ; =>This Inner Loop Header: Depth=1
	s_delay_alu instid0(VALU_DEP_2) | instskip(NEXT) | instid1(VALU_DEP_2)
	v_ashrrev_i32_e32 v3, 31, v2
	v_ashrrev_i32_e32 v5, 31, v4
	s_add_i32 s6, s6, -1
	s_delay_alu instid0(SALU_CYCLE_1) | instskip(NEXT) | instid1(VALU_DEP_2)
	s_cmp_eq_u32 s6, 0
	v_lshlrev_b64 v[7:8], 2, v[2:3]
	s_delay_alu instid0(VALU_DEP_2) | instskip(SKIP_3) | instid1(VALU_DEP_4)
	v_lshlrev_b64 v[9:10], 2, v[4:5]
	v_add_nc_u32_e32 v4, s5, v4
	v_add_nc_u32_e32 v2, s4, v2
	s_waitcnt lgkmcnt(0)
	v_add_co_u32 v7, vcc_lo, s0, v7
	v_add_co_ci_u32_e32 v8, vcc_lo, s1, v8, vcc_lo
	v_add_co_u32 v9, vcc_lo, s2, v9
	v_add_co_ci_u32_e32 v10, vcc_lo, s3, v10, vcc_lo
	global_load_b32 v3, v[7:8], off
	global_load_b32 v5, v[9:10], off
	s_waitcnt vmcnt(0)
	v_fmac_f32_e32 v6, v3, v5
	s_cbranch_scc0 .LBB7_3
	s_branch .LBB7_5
.LBB7_4:
	v_mov_b32_e32 v6, 0
.LBB7_5:
	v_mad_u64_u32 v[2:3], null, v0, s5, v[1:2]
	s_delay_alu instid0(VALU_DEP_1) | instskip(NEXT) | instid1(VALU_DEP_1)
	v_ashrrev_i32_e32 v3, 31, v2
	v_lshlrev_b64 v[0:1], 2, v[2:3]
	s_waitcnt lgkmcnt(0)
	s_delay_alu instid0(VALU_DEP_1) | instskip(NEXT) | instid1(VALU_DEP_2)
	v_add_co_u32 v0, vcc_lo, s8, v0
	v_add_co_ci_u32_e32 v1, vcc_lo, s9, v1, vcc_lo
	global_store_b32 v[0:1], v6, off
.LBB7_6:
	s_nop 0
	s_sendmsg sendmsg(MSG_DEALLOC_VGPRS)
	s_endpgm
	.section	.rodata,"a",@progbits
	.p2align	6, 0x0
	.amdhsa_kernel _ZN2ck17naive_gemm_kernelINS_13tensor_layout4gemm11ColumnMajorENS2_8RowMajorES4_ffffNS_16tensor_operation12element_wise11PassThroughES7_S7_ffEEvPKT2_PKT3_PT4_iiiT6_T7_T8_
		.amdhsa_group_segment_fixed_size 0
		.amdhsa_private_segment_fixed_size 0
		.amdhsa_kernarg_size 296
		.amdhsa_user_sgpr_count 14
		.amdhsa_user_sgpr_dispatch_ptr 0
		.amdhsa_user_sgpr_queue_ptr 0
		.amdhsa_user_sgpr_kernarg_segment_ptr 1
		.amdhsa_user_sgpr_dispatch_id 0
		.amdhsa_user_sgpr_private_segment_size 0
		.amdhsa_wavefront_size32 1
		.amdhsa_uses_dynamic_stack 0
		.amdhsa_enable_private_segment 0
		.amdhsa_system_sgpr_workgroup_id_x 1
		.amdhsa_system_sgpr_workgroup_id_y 1
		.amdhsa_system_sgpr_workgroup_id_z 0
		.amdhsa_system_sgpr_workgroup_info 0
		.amdhsa_system_vgpr_workitem_id 1
		.amdhsa_next_free_vgpr 11
		.amdhsa_next_free_sgpr 16
		.amdhsa_reserve_vcc 1
		.amdhsa_float_round_mode_32 0
		.amdhsa_float_round_mode_16_64 0
		.amdhsa_float_denorm_mode_32 3
		.amdhsa_float_denorm_mode_16_64 3
		.amdhsa_dx10_clamp 1
		.amdhsa_ieee_mode 1
		.amdhsa_fp16_overflow 0
		.amdhsa_workgroup_processor_mode 1
		.amdhsa_memory_ordered 1
		.amdhsa_forward_progress 0
		.amdhsa_shared_vgpr_count 0
		.amdhsa_exception_fp_ieee_invalid_op 0
		.amdhsa_exception_fp_denorm_src 0
		.amdhsa_exception_fp_ieee_div_zero 0
		.amdhsa_exception_fp_ieee_overflow 0
		.amdhsa_exception_fp_ieee_underflow 0
		.amdhsa_exception_fp_ieee_inexact 0
		.amdhsa_exception_int_div_zero 0
	.end_amdhsa_kernel
	.section	.text._ZN2ck17naive_gemm_kernelINS_13tensor_layout4gemm11ColumnMajorENS2_8RowMajorES4_ffffNS_16tensor_operation12element_wise11PassThroughES7_S7_ffEEvPKT2_PKT3_PT4_iiiT6_T7_T8_,"axG",@progbits,_ZN2ck17naive_gemm_kernelINS_13tensor_layout4gemm11ColumnMajorENS2_8RowMajorES4_ffffNS_16tensor_operation12element_wise11PassThroughES7_S7_ffEEvPKT2_PKT3_PT4_iiiT6_T7_T8_,comdat
.Lfunc_end7:
	.size	_ZN2ck17naive_gemm_kernelINS_13tensor_layout4gemm11ColumnMajorENS2_8RowMajorES4_ffffNS_16tensor_operation12element_wise11PassThroughES7_S7_ffEEvPKT2_PKT3_PT4_iiiT6_T7_T8_, .Lfunc_end7-_ZN2ck17naive_gemm_kernelINS_13tensor_layout4gemm11ColumnMajorENS2_8RowMajorES4_ffffNS_16tensor_operation12element_wise11PassThroughES7_S7_ffEEvPKT2_PKT3_PT4_iiiT6_T7_T8_
                                        ; -- End function
	.section	.AMDGPU.csdata,"",@progbits
; Kernel info:
; codeLenInByte = 320
; NumSgprs: 18
; NumVgprs: 11
; ScratchSize: 0
; MemoryBound: 0
; FloatMode: 240
; IeeeMode: 1
; LDSByteSize: 0 bytes/workgroup (compile time only)
; SGPRBlocks: 2
; VGPRBlocks: 1
; NumSGPRsForWavesPerEU: 18
; NumVGPRsForWavesPerEU: 11
; Occupancy: 16
; WaveLimiterHint : 0
; COMPUTE_PGM_RSRC2:SCRATCH_EN: 0
; COMPUTE_PGM_RSRC2:USER_SGPR: 14
; COMPUTE_PGM_RSRC2:TRAP_HANDLER: 0
; COMPUTE_PGM_RSRC2:TGID_X_EN: 1
; COMPUTE_PGM_RSRC2:TGID_Y_EN: 1
; COMPUTE_PGM_RSRC2:TGID_Z_EN: 0
; COMPUTE_PGM_RSRC2:TIDIG_COMP_CNT: 1
	.text
	.p2alignl 7, 3214868480
	.fill 96, 4, 3214868480
	.type	__hip_cuid_1e1bf2bb4833d7d9,@object ; @__hip_cuid_1e1bf2bb4833d7d9
	.section	.bss,"aw",@nobits
	.globl	__hip_cuid_1e1bf2bb4833d7d9
__hip_cuid_1e1bf2bb4833d7d9:
	.byte	0                               ; 0x0
	.size	__hip_cuid_1e1bf2bb4833d7d9, 1

	.ident	"AMD clang version 19.0.0git (https://github.com/RadeonOpenCompute/llvm-project roc-6.4.0 25133 c7fe45cf4b819c5991fe208aaa96edf142730f1d)"
	.section	".note.GNU-stack","",@progbits
	.addrsig
	.addrsig_sym __hip_cuid_1e1bf2bb4833d7d9
	.amdgpu_metadata
---
amdhsa.kernels:
  - .args:           []
    .group_segment_fixed_size: 0
    .kernarg_segment_align: 4
    .kernarg_segment_size: 0
    .language:       OpenCL C
    .language_version:
      - 2
      - 0
    .max_flat_workgroup_size: 1024
    .name:           _ZN2ckL12flush_icacheEv
    .private_segment_fixed_size: 0
    .sgpr_count:     0
    .sgpr_spill_count: 0
    .symbol:         _ZN2ckL12flush_icacheEv.kd
    .uniform_work_group_size: 1
    .uses_dynamic_stack: false
    .vgpr_count:     0
    .vgpr_spill_count: 0
    .wavefront_size: 32
    .workgroup_processor_mode: 1
  - .args:
      - .address_space:  global
        .offset:         0
        .size:           8
        .value_kind:     global_buffer
      - .address_space:  global
        .offset:         8
        .size:           8
        .value_kind:     global_buffer
      - .address_space:  global
        .offset:         16
        .size:           8
        .value_kind:     global_buffer
      - .offset:         24
        .size:           64
        .value_kind:     by_value
      - .offset:         88
        .size:           64
        .value_kind:     by_value
      - .offset:         152
        .size:           64
        .value_kind:     by_value
      - .offset:         216
        .size:           112
        .value_kind:     by_value
      - .offset:         328
        .size:           4
        .value_kind:     hidden_block_count_x
      - .offset:         332
        .size:           4
        .value_kind:     hidden_block_count_y
      - .offset:         336
        .size:           4
        .value_kind:     hidden_block_count_z
      - .offset:         340
        .size:           2
        .value_kind:     hidden_group_size_x
      - .offset:         342
        .size:           2
        .value_kind:     hidden_group_size_y
      - .offset:         344
        .size:           2
        .value_kind:     hidden_group_size_z
      - .offset:         346
        .size:           2
        .value_kind:     hidden_remainder_x
      - .offset:         348
        .size:           2
        .value_kind:     hidden_remainder_y
      - .offset:         350
        .size:           2
        .value_kind:     hidden_remainder_z
      - .offset:         368
        .size:           8
        .value_kind:     hidden_global_offset_x
      - .offset:         376
        .size:           8
        .value_kind:     hidden_global_offset_y
      - .offset:         384
        .size:           8
        .value_kind:     hidden_global_offset_z
      - .offset:         392
        .size:           2
        .value_kind:     hidden_grid_dims
    .group_segment_fixed_size: 32768
    .kernarg_segment_align: 8
    .kernarg_segment_size: 584
    .language:       OpenCL C
    .language_version:
      - 2
      - 0
    .max_flat_workgroup_size: 256
    .name:           _ZN2ck19kernel_gemm_dl_v1r3INS_28GridwiseGemmDl_km_kn_mn_v1r3ILi256EfffLNS_25InMemoryDataOperationEnumE0ENS_16TensorDescriptorINS_5TupleIJNS_5EmbedINS4_IJiiEEENS4_IJNS_17integral_constantIiLi1EEEiEEELb0EEENS_7UnMergeINS4_IJiS8_EEELb0EEENS_11PassThroughIiEEEEENS4_IJNS_8SequenceIJLi0EEEENSH_IJLi2EEEENSH_IJLi1EEEEEEENS4_IJNSH_IJLi1ELi2EEEENSH_IJLi3ELi4EEEENSH_IJLi5EEEEEEENSH_IJLi3ELi5ELi4EEEElEENS3_INS4_IJNS5_IS6_SC_Lb0EEESD_SF_EEENS4_IJSI_SK_SJ_EEESP_SQ_lEENS3_INS4_IJSS_SF_SF_EEESU_NS4_IJSM_NSH_IJLi3EEEENSH_IJLi4EEEEEEESN_lEELi128ELi128ELi16ELi1ELi4ELi4ELi1ENSH_IJLi8ELi2EEEES11_NSH_IJLi2ELi1ELi4ELi1EEEENSH_IJLi8ELi1ELi32ELi1EEEENSH_IJLi0ELi3ELi1ELi2EEEES14_NSH_IJLi1ELi1ELi4ELi1EEEES14_S15_S12_S13_S14_S14_S15_S14_S15_NSH_IJLi0ELi1ELi2ELi3ELi4ELi5EEEELi5ELi4EEEffNS3_INS4_IJSA_SD_SF_SF_NSB_INS4_IJiNS7_IiLi128EEEEEELb0EEENSE_IS8_EEEEENS4_IJSI_SJ_SK_SX_SO_SY_EEENS4_IJSM_SN_SO_NSH_IJLi6EEEENSH_IJLi7ELi8EEEENSH_IJLi9EEEEEEENSH_IJLi6ELi7ELi8ELi9EEEElEENS3_INS4_IJSS_SD_SF_SF_S1A_S1B_EEENS4_IJSI_SK_SJ_SX_SO_SY_EEES1H_S1I_lEENS3_INS4_IJSS_SF_SF_NSB_INS4_IJiNS7_IiLi2EEENS7_IiLi64EEEEEELb0EEES1Q_EEENS4_IJSI_SK_SJ_SX_SY_EEENS4_IJSM_SX_SY_NSH_IJLi5ELi6ELi7EEEENSH_IJLi8ELi9ELi10EEEEEEENSH_IJLi5ELi6ELi7ELi8ELi9ELi10EEEElEENS_31BlockToCTileMap_M00_N00_M01_N01ILi128ELi128ES10_Lb0EEELb1ELb1EEEvPKT0_S22_PT1_T2_T3_T4_T5_
    .private_segment_fixed_size: 320
    .sgpr_count:     94
    .sgpr_spill_count: 0
    .symbol:         _ZN2ck19kernel_gemm_dl_v1r3INS_28GridwiseGemmDl_km_kn_mn_v1r3ILi256EfffLNS_25InMemoryDataOperationEnumE0ENS_16TensorDescriptorINS_5TupleIJNS_5EmbedINS4_IJiiEEENS4_IJNS_17integral_constantIiLi1EEEiEEELb0EEENS_7UnMergeINS4_IJiS8_EEELb0EEENS_11PassThroughIiEEEEENS4_IJNS_8SequenceIJLi0EEEENSH_IJLi2EEEENSH_IJLi1EEEEEEENS4_IJNSH_IJLi1ELi2EEEENSH_IJLi3ELi4EEEENSH_IJLi5EEEEEEENSH_IJLi3ELi5ELi4EEEElEENS3_INS4_IJNS5_IS6_SC_Lb0EEESD_SF_EEENS4_IJSI_SK_SJ_EEESP_SQ_lEENS3_INS4_IJSS_SF_SF_EEESU_NS4_IJSM_NSH_IJLi3EEEENSH_IJLi4EEEEEEESN_lEELi128ELi128ELi16ELi1ELi4ELi4ELi1ENSH_IJLi8ELi2EEEES11_NSH_IJLi2ELi1ELi4ELi1EEEENSH_IJLi8ELi1ELi32ELi1EEEENSH_IJLi0ELi3ELi1ELi2EEEES14_NSH_IJLi1ELi1ELi4ELi1EEEES14_S15_S12_S13_S14_S14_S15_S14_S15_NSH_IJLi0ELi1ELi2ELi3ELi4ELi5EEEELi5ELi4EEEffNS3_INS4_IJSA_SD_SF_SF_NSB_INS4_IJiNS7_IiLi128EEEEEELb0EEENSE_IS8_EEEEENS4_IJSI_SJ_SK_SX_SO_SY_EEENS4_IJSM_SN_SO_NSH_IJLi6EEEENSH_IJLi7ELi8EEEENSH_IJLi9EEEEEEENSH_IJLi6ELi7ELi8ELi9EEEElEENS3_INS4_IJSS_SD_SF_SF_S1A_S1B_EEENS4_IJSI_SK_SJ_SX_SO_SY_EEES1H_S1I_lEENS3_INS4_IJSS_SF_SF_NSB_INS4_IJiNS7_IiLi2EEENS7_IiLi64EEEEEELb0EEES1Q_EEENS4_IJSI_SK_SJ_SX_SY_EEENS4_IJSM_SX_SY_NSH_IJLi5ELi6ELi7EEEENSH_IJLi8ELi9ELi10EEEEEEENSH_IJLi5ELi6ELi7ELi8ELi9ELi10EEEElEENS_31BlockToCTileMap_M00_N00_M01_N01ILi128ELi128ES10_Lb0EEELb1ELb1EEEvPKT0_S22_PT1_T2_T3_T4_T5_.kd
    .uniform_work_group_size: 1
    .uses_dynamic_stack: false
    .vgpr_count:     212
    .vgpr_spill_count: 0
    .wavefront_size: 32
    .workgroup_processor_mode: 1
  - .args:
      - .address_space:  global
        .offset:         0
        .size:           8
        .value_kind:     global_buffer
      - .address_space:  global
        .offset:         8
        .size:           8
        .value_kind:     global_buffer
      - .address_space:  global
        .offset:         16
        .size:           8
        .value_kind:     global_buffer
      - .offset:         24
        .size:           64
        .value_kind:     by_value
      - .offset:         88
        .size:           64
        .value_kind:     by_value
      - .offset:         152
        .size:           64
        .value_kind:     by_value
      - .offset:         216
        .size:           112
        .value_kind:     by_value
      - .offset:         328
        .size:           4
        .value_kind:     hidden_block_count_x
      - .offset:         332
        .size:           4
        .value_kind:     hidden_block_count_y
      - .offset:         336
        .size:           4
        .value_kind:     hidden_block_count_z
      - .offset:         340
        .size:           2
        .value_kind:     hidden_group_size_x
      - .offset:         342
        .size:           2
        .value_kind:     hidden_group_size_y
      - .offset:         344
        .size:           2
        .value_kind:     hidden_group_size_z
      - .offset:         346
        .size:           2
        .value_kind:     hidden_remainder_x
      - .offset:         348
        .size:           2
        .value_kind:     hidden_remainder_y
      - .offset:         350
        .size:           2
        .value_kind:     hidden_remainder_z
      - .offset:         368
        .size:           8
        .value_kind:     hidden_global_offset_x
      - .offset:         376
        .size:           8
        .value_kind:     hidden_global_offset_y
      - .offset:         384
        .size:           8
        .value_kind:     hidden_global_offset_z
      - .offset:         392
        .size:           2
        .value_kind:     hidden_grid_dims
    .group_segment_fixed_size: 32768
    .kernarg_segment_align: 8
    .kernarg_segment_size: 584
    .language:       OpenCL C
    .language_version:
      - 2
      - 0
    .max_flat_workgroup_size: 256
    .name:           _ZN2ck19kernel_gemm_dl_v1r3INS_28GridwiseGemmDl_km_kn_mn_v1r3ILi256EfffLNS_25InMemoryDataOperationEnumE0ENS_16TensorDescriptorINS_5TupleIJNS_5EmbedINS4_IJiiEEENS4_IJNS_17integral_constantIiLi1EEEiEEELb0EEENS_7UnMergeINS4_IJiS8_EEELb0EEENS_11PassThroughIiEEEEENS4_IJNS_8SequenceIJLi0EEEENSH_IJLi2EEEENSH_IJLi1EEEEEEENS4_IJNSH_IJLi1ELi2EEEENSH_IJLi3ELi4EEEENSH_IJLi5EEEEEEENSH_IJLi3ELi5ELi4EEEElEENS3_INS4_IJNS5_IS6_SC_Lb0EEESD_SF_EEENS4_IJSI_SK_SJ_EEESP_SQ_lEENS3_INS4_IJSS_SF_SF_EEESU_NS4_IJSM_NSH_IJLi3EEEENSH_IJLi4EEEEEEESN_lEELi128ELi128ELi16ELi1ELi4ELi4ELi1ENSH_IJLi8ELi2EEEES11_NSH_IJLi2ELi1ELi4ELi1EEEENSH_IJLi8ELi1ELi32ELi1EEEENSH_IJLi0ELi3ELi1ELi2EEEES14_NSH_IJLi1ELi1ELi4ELi1EEEES14_S15_S12_S13_S14_S14_S15_S14_S15_NSH_IJLi0ELi1ELi2ELi3ELi4ELi5EEEELi5ELi4EEEffNS3_INS4_IJSA_SD_SF_SF_NSB_INS4_IJiNS7_IiLi128EEEEEELb0EEENSE_IS8_EEEEENS4_IJSI_SJ_SK_SX_SO_SY_EEENS4_IJSM_SN_SO_NSH_IJLi6EEEENSH_IJLi7ELi8EEEENSH_IJLi9EEEEEEENSH_IJLi6ELi7ELi8ELi9EEEElEENS3_INS4_IJSS_SD_SF_SF_S1A_S1B_EEENS4_IJSI_SK_SJ_SX_SO_SY_EEES1H_S1I_lEENS3_INS4_IJSS_SF_SF_NSB_INS4_IJiNS7_IiLi2EEENS7_IiLi64EEEEEELb0EEES1Q_EEENS4_IJSI_SK_SJ_SX_SY_EEENS4_IJSM_SX_SY_NSH_IJLi5ELi6ELi7EEEENSH_IJLi8ELi9ELi10EEEEEEENSH_IJLi5ELi6ELi7ELi8ELi9ELi10EEEElEENS_31BlockToCTileMap_M00_N00_M01_N01ILi128ELi128ES10_Lb0EEELb1ELb0EEEvPKT0_S22_PT1_T2_T3_T4_T5_
    .private_segment_fixed_size: 320
    .sgpr_count:     94
    .sgpr_spill_count: 0
    .symbol:         _ZN2ck19kernel_gemm_dl_v1r3INS_28GridwiseGemmDl_km_kn_mn_v1r3ILi256EfffLNS_25InMemoryDataOperationEnumE0ENS_16TensorDescriptorINS_5TupleIJNS_5EmbedINS4_IJiiEEENS4_IJNS_17integral_constantIiLi1EEEiEEELb0EEENS_7UnMergeINS4_IJiS8_EEELb0EEENS_11PassThroughIiEEEEENS4_IJNS_8SequenceIJLi0EEEENSH_IJLi2EEEENSH_IJLi1EEEEEEENS4_IJNSH_IJLi1ELi2EEEENSH_IJLi3ELi4EEEENSH_IJLi5EEEEEEENSH_IJLi3ELi5ELi4EEEElEENS3_INS4_IJNS5_IS6_SC_Lb0EEESD_SF_EEENS4_IJSI_SK_SJ_EEESP_SQ_lEENS3_INS4_IJSS_SF_SF_EEESU_NS4_IJSM_NSH_IJLi3EEEENSH_IJLi4EEEEEEESN_lEELi128ELi128ELi16ELi1ELi4ELi4ELi1ENSH_IJLi8ELi2EEEES11_NSH_IJLi2ELi1ELi4ELi1EEEENSH_IJLi8ELi1ELi32ELi1EEEENSH_IJLi0ELi3ELi1ELi2EEEES14_NSH_IJLi1ELi1ELi4ELi1EEEES14_S15_S12_S13_S14_S14_S15_S14_S15_NSH_IJLi0ELi1ELi2ELi3ELi4ELi5EEEELi5ELi4EEEffNS3_INS4_IJSA_SD_SF_SF_NSB_INS4_IJiNS7_IiLi128EEEEEELb0EEENSE_IS8_EEEEENS4_IJSI_SJ_SK_SX_SO_SY_EEENS4_IJSM_SN_SO_NSH_IJLi6EEEENSH_IJLi7ELi8EEEENSH_IJLi9EEEEEEENSH_IJLi6ELi7ELi8ELi9EEEElEENS3_INS4_IJSS_SD_SF_SF_S1A_S1B_EEENS4_IJSI_SK_SJ_SX_SO_SY_EEES1H_S1I_lEENS3_INS4_IJSS_SF_SF_NSB_INS4_IJiNS7_IiLi2EEENS7_IiLi64EEEEEELb0EEES1Q_EEENS4_IJSI_SK_SJ_SX_SY_EEENS4_IJSM_SX_SY_NSH_IJLi5ELi6ELi7EEEENSH_IJLi8ELi9ELi10EEEEEEENSH_IJLi5ELi6ELi7ELi8ELi9ELi10EEEElEENS_31BlockToCTileMap_M00_N00_M01_N01ILi128ELi128ES10_Lb0EEELb1ELb0EEEvPKT0_S22_PT1_T2_T3_T4_T5_.kd
    .uniform_work_group_size: 1
    .uses_dynamic_stack: false
    .vgpr_count:     212
    .vgpr_spill_count: 0
    .wavefront_size: 32
    .workgroup_processor_mode: 1
  - .args:
      - .address_space:  global
        .offset:         0
        .size:           8
        .value_kind:     global_buffer
      - .address_space:  global
        .offset:         8
        .size:           8
        .value_kind:     global_buffer
      - .address_space:  global
        .offset:         16
        .size:           8
        .value_kind:     global_buffer
      - .offset:         24
        .size:           64
        .value_kind:     by_value
      - .offset:         88
        .size:           64
        .value_kind:     by_value
      - .offset:         152
        .size:           64
        .value_kind:     by_value
      - .offset:         216
        .size:           112
        .value_kind:     by_value
    .group_segment_fixed_size: 32768
    .kernarg_segment_align: 8
    .kernarg_segment_size: 328
    .language:       OpenCL C
    .language_version:
      - 2
      - 0
    .max_flat_workgroup_size: 256
    .name:           _ZN2ck19kernel_gemm_dl_v1r3INS_28GridwiseGemmDl_km_kn_mn_v1r3ILi256EfffLNS_25InMemoryDataOperationEnumE0ENS_16TensorDescriptorINS_5TupleIJNS_5EmbedINS4_IJiiEEENS4_IJNS_17integral_constantIiLi1EEEiEEELb0EEENS_7UnMergeINS4_IJiS8_EEELb0EEENS_11PassThroughIiEEEEENS4_IJNS_8SequenceIJLi0EEEENSH_IJLi2EEEENSH_IJLi1EEEEEEENS4_IJNSH_IJLi1ELi2EEEENSH_IJLi3ELi4EEEENSH_IJLi5EEEEEEENSH_IJLi3ELi5ELi4EEEElEENS3_INS4_IJNS5_IS6_SC_Lb0EEESD_SF_EEENS4_IJSI_SK_SJ_EEESP_SQ_lEENS3_INS4_IJSS_SF_SF_EEESU_NS4_IJSM_NSH_IJLi3EEEENSH_IJLi4EEEEEEESN_lEELi128ELi128ELi16ELi1ELi4ELi4ELi1ENSH_IJLi8ELi2EEEES11_NSH_IJLi2ELi1ELi4ELi1EEEENSH_IJLi8ELi1ELi32ELi1EEEENSH_IJLi0ELi3ELi1ELi2EEEES14_NSH_IJLi1ELi1ELi4ELi1EEEES14_S15_S12_S13_S14_S14_S15_S14_S15_NSH_IJLi0ELi1ELi2ELi3ELi4ELi5EEEELi5ELi4EEEffNS3_INS4_IJSA_SD_SF_SF_NSB_INS4_IJiNS7_IiLi128EEEEEELb0EEENSE_IS8_EEEEENS4_IJSI_SJ_SK_SX_SO_SY_EEENS4_IJSM_SN_SO_NSH_IJLi6EEEENSH_IJLi7ELi8EEEENSH_IJLi9EEEEEEENSH_IJLi6ELi7ELi8ELi9EEEElEENS3_INS4_IJSS_SD_SF_SF_S1A_S1B_EEENS4_IJSI_SK_SJ_SX_SO_SY_EEES1H_S1I_lEENS3_INS4_IJSS_SF_SF_NSB_INS4_IJiNS7_IiLi2EEENS7_IiLi64EEEEEELb0EEES1Q_EEENS4_IJSI_SK_SJ_SX_SY_EEENS4_IJSM_SX_SY_NSH_IJLi5ELi6ELi7EEEENSH_IJLi8ELi9ELi10EEEEEEENSH_IJLi5ELi6ELi7ELi8ELi9ELi10EEEElEENS_31BlockToCTileMap_M00_N00_M01_N01ILi128ELi128ES10_Lb0EEELb0ELb1EEEvPKT0_S22_PT1_T2_T3_T4_T5_
    .private_segment_fixed_size: 0
    .sgpr_count:     24
    .sgpr_spill_count: 0
    .symbol:         _ZN2ck19kernel_gemm_dl_v1r3INS_28GridwiseGemmDl_km_kn_mn_v1r3ILi256EfffLNS_25InMemoryDataOperationEnumE0ENS_16TensorDescriptorINS_5TupleIJNS_5EmbedINS4_IJiiEEENS4_IJNS_17integral_constantIiLi1EEEiEEELb0EEENS_7UnMergeINS4_IJiS8_EEELb0EEENS_11PassThroughIiEEEEENS4_IJNS_8SequenceIJLi0EEEENSH_IJLi2EEEENSH_IJLi1EEEEEEENS4_IJNSH_IJLi1ELi2EEEENSH_IJLi3ELi4EEEENSH_IJLi5EEEEEEENSH_IJLi3ELi5ELi4EEEElEENS3_INS4_IJNS5_IS6_SC_Lb0EEESD_SF_EEENS4_IJSI_SK_SJ_EEESP_SQ_lEENS3_INS4_IJSS_SF_SF_EEESU_NS4_IJSM_NSH_IJLi3EEEENSH_IJLi4EEEEEEESN_lEELi128ELi128ELi16ELi1ELi4ELi4ELi1ENSH_IJLi8ELi2EEEES11_NSH_IJLi2ELi1ELi4ELi1EEEENSH_IJLi8ELi1ELi32ELi1EEEENSH_IJLi0ELi3ELi1ELi2EEEES14_NSH_IJLi1ELi1ELi4ELi1EEEES14_S15_S12_S13_S14_S14_S15_S14_S15_NSH_IJLi0ELi1ELi2ELi3ELi4ELi5EEEELi5ELi4EEEffNS3_INS4_IJSA_SD_SF_SF_NSB_INS4_IJiNS7_IiLi128EEEEEELb0EEENSE_IS8_EEEEENS4_IJSI_SJ_SK_SX_SO_SY_EEENS4_IJSM_SN_SO_NSH_IJLi6EEEENSH_IJLi7ELi8EEEENSH_IJLi9EEEEEEENSH_IJLi6ELi7ELi8ELi9EEEElEENS3_INS4_IJSS_SD_SF_SF_S1A_S1B_EEENS4_IJSI_SK_SJ_SX_SO_SY_EEES1H_S1I_lEENS3_INS4_IJSS_SF_SF_NSB_INS4_IJiNS7_IiLi2EEENS7_IiLi64EEEEEELb0EEES1Q_EEENS4_IJSI_SK_SJ_SX_SY_EEENS4_IJSM_SX_SY_NSH_IJLi5ELi6ELi7EEEENSH_IJLi8ELi9ELi10EEEEEEENSH_IJLi5ELi6ELi7ELi8ELi9ELi10EEEElEENS_31BlockToCTileMap_M00_N00_M01_N01ILi128ELi128ES10_Lb0EEELb0ELb1EEEvPKT0_S22_PT1_T2_T3_T4_T5_.kd
    .uniform_work_group_size: 1
    .uses_dynamic_stack: false
    .vgpr_count:     101
    .vgpr_spill_count: 0
    .wavefront_size: 32
    .workgroup_processor_mode: 1
  - .args:
      - .address_space:  global
        .offset:         0
        .size:           8
        .value_kind:     global_buffer
      - .address_space:  global
        .offset:         8
        .size:           8
        .value_kind:     global_buffer
      - .address_space:  global
        .offset:         16
        .size:           8
        .value_kind:     global_buffer
      - .offset:         24
        .size:           64
        .value_kind:     by_value
      - .offset:         88
        .size:           64
        .value_kind:     by_value
      - .offset:         152
        .size:           64
        .value_kind:     by_value
      - .offset:         216
        .size:           112
        .value_kind:     by_value
    .group_segment_fixed_size: 32768
    .kernarg_segment_align: 8
    .kernarg_segment_size: 328
    .language:       OpenCL C
    .language_version:
      - 2
      - 0
    .max_flat_workgroup_size: 256
    .name:           _ZN2ck19kernel_gemm_dl_v1r3INS_28GridwiseGemmDl_km_kn_mn_v1r3ILi256EfffLNS_25InMemoryDataOperationEnumE0ENS_16TensorDescriptorINS_5TupleIJNS_5EmbedINS4_IJiiEEENS4_IJNS_17integral_constantIiLi1EEEiEEELb0EEENS_7UnMergeINS4_IJiS8_EEELb0EEENS_11PassThroughIiEEEEENS4_IJNS_8SequenceIJLi0EEEENSH_IJLi2EEEENSH_IJLi1EEEEEEENS4_IJNSH_IJLi1ELi2EEEENSH_IJLi3ELi4EEEENSH_IJLi5EEEEEEENSH_IJLi3ELi5ELi4EEEElEENS3_INS4_IJNS5_IS6_SC_Lb0EEESD_SF_EEENS4_IJSI_SK_SJ_EEESP_SQ_lEENS3_INS4_IJSS_SF_SF_EEESU_NS4_IJSM_NSH_IJLi3EEEENSH_IJLi4EEEEEEESN_lEELi128ELi128ELi16ELi1ELi4ELi4ELi1ENSH_IJLi8ELi2EEEES11_NSH_IJLi2ELi1ELi4ELi1EEEENSH_IJLi8ELi1ELi32ELi1EEEENSH_IJLi0ELi3ELi1ELi2EEEES14_NSH_IJLi1ELi1ELi4ELi1EEEES14_S15_S12_S13_S14_S14_S15_S14_S15_NSH_IJLi0ELi1ELi2ELi3ELi4ELi5EEEELi5ELi4EEEffNS3_INS4_IJSA_SD_SF_SF_NSB_INS4_IJiNS7_IiLi128EEEEEELb0EEENSE_IS8_EEEEENS4_IJSI_SJ_SK_SX_SO_SY_EEENS4_IJSM_SN_SO_NSH_IJLi6EEEENSH_IJLi7ELi8EEEENSH_IJLi9EEEEEEENSH_IJLi6ELi7ELi8ELi9EEEElEENS3_INS4_IJSS_SD_SF_SF_S1A_S1B_EEENS4_IJSI_SK_SJ_SX_SO_SY_EEES1H_S1I_lEENS3_INS4_IJSS_SF_SF_NSB_INS4_IJiNS7_IiLi2EEENS7_IiLi64EEEEEELb0EEES1Q_EEENS4_IJSI_SK_SJ_SX_SY_EEENS4_IJSM_SX_SY_NSH_IJLi5ELi6ELi7EEEENSH_IJLi8ELi9ELi10EEEEEEENSH_IJLi5ELi6ELi7ELi8ELi9ELi10EEEElEENS_31BlockToCTileMap_M00_N00_M01_N01ILi128ELi128ES10_Lb0EEELb0ELb0EEEvPKT0_S22_PT1_T2_T3_T4_T5_
    .private_segment_fixed_size: 0
    .sgpr_count:     28
    .sgpr_spill_count: 0
    .symbol:         _ZN2ck19kernel_gemm_dl_v1r3INS_28GridwiseGemmDl_km_kn_mn_v1r3ILi256EfffLNS_25InMemoryDataOperationEnumE0ENS_16TensorDescriptorINS_5TupleIJNS_5EmbedINS4_IJiiEEENS4_IJNS_17integral_constantIiLi1EEEiEEELb0EEENS_7UnMergeINS4_IJiS8_EEELb0EEENS_11PassThroughIiEEEEENS4_IJNS_8SequenceIJLi0EEEENSH_IJLi2EEEENSH_IJLi1EEEEEEENS4_IJNSH_IJLi1ELi2EEEENSH_IJLi3ELi4EEEENSH_IJLi5EEEEEEENSH_IJLi3ELi5ELi4EEEElEENS3_INS4_IJNS5_IS6_SC_Lb0EEESD_SF_EEENS4_IJSI_SK_SJ_EEESP_SQ_lEENS3_INS4_IJSS_SF_SF_EEESU_NS4_IJSM_NSH_IJLi3EEEENSH_IJLi4EEEEEEESN_lEELi128ELi128ELi16ELi1ELi4ELi4ELi1ENSH_IJLi8ELi2EEEES11_NSH_IJLi2ELi1ELi4ELi1EEEENSH_IJLi8ELi1ELi32ELi1EEEENSH_IJLi0ELi3ELi1ELi2EEEES14_NSH_IJLi1ELi1ELi4ELi1EEEES14_S15_S12_S13_S14_S14_S15_S14_S15_NSH_IJLi0ELi1ELi2ELi3ELi4ELi5EEEELi5ELi4EEEffNS3_INS4_IJSA_SD_SF_SF_NSB_INS4_IJiNS7_IiLi128EEEEEELb0EEENSE_IS8_EEEEENS4_IJSI_SJ_SK_SX_SO_SY_EEENS4_IJSM_SN_SO_NSH_IJLi6EEEENSH_IJLi7ELi8EEEENSH_IJLi9EEEEEEENSH_IJLi6ELi7ELi8ELi9EEEElEENS3_INS4_IJSS_SD_SF_SF_S1A_S1B_EEENS4_IJSI_SK_SJ_SX_SO_SY_EEES1H_S1I_lEENS3_INS4_IJSS_SF_SF_NSB_INS4_IJiNS7_IiLi2EEENS7_IiLi64EEEEEELb0EEES1Q_EEENS4_IJSI_SK_SJ_SX_SY_EEENS4_IJSM_SX_SY_NSH_IJLi5ELi6ELi7EEEENSH_IJLi8ELi9ELi10EEEEEEENSH_IJLi5ELi6ELi7ELi8ELi9ELi10EEEElEENS_31BlockToCTileMap_M00_N00_M01_N01ILi128ELi128ES10_Lb0EEELb0ELb0EEEvPKT0_S22_PT1_T2_T3_T4_T5_.kd
    .uniform_work_group_size: 1
    .uses_dynamic_stack: false
    .vgpr_count:     84
    .vgpr_spill_count: 0
    .wavefront_size: 32
    .workgroup_processor_mode: 1
  - .args:
      - .actual_access:  read_only
        .address_space:  global
        .offset:         0
        .size:           8
        .value_kind:     global_buffer
      - .actual_access:  read_only
        .address_space:  global
        .offset:         8
        .size:           8
        .value_kind:     global_buffer
      - .actual_access:  write_only
        .address_space:  global
        .offset:         16
        .size:           8
        .value_kind:     global_buffer
      - .offset:         24
        .size:           4
        .value_kind:     by_value
      - .offset:         28
        .size:           4
        .value_kind:     by_value
      - .offset:         32
        .size:           4
        .value_kind:     by_value
      - .offset:         36
        .size:           1
        .value_kind:     by_value
      - .offset:         37
        .size:           1
        .value_kind:     by_value
      - .offset:         38
        .size:           1
        .value_kind:     by_value
      - .offset:         40
        .size:           4
        .value_kind:     hidden_block_count_x
      - .offset:         44
        .size:           4
        .value_kind:     hidden_block_count_y
      - .offset:         48
        .size:           4
        .value_kind:     hidden_block_count_z
      - .offset:         52
        .size:           2
        .value_kind:     hidden_group_size_x
      - .offset:         54
        .size:           2
        .value_kind:     hidden_group_size_y
      - .offset:         56
        .size:           2
        .value_kind:     hidden_group_size_z
      - .offset:         58
        .size:           2
        .value_kind:     hidden_remainder_x
      - .offset:         60
        .size:           2
        .value_kind:     hidden_remainder_y
      - .offset:         62
        .size:           2
        .value_kind:     hidden_remainder_z
      - .offset:         80
        .size:           8
        .value_kind:     hidden_global_offset_x
      - .offset:         88
        .size:           8
        .value_kind:     hidden_global_offset_y
      - .offset:         96
        .size:           8
        .value_kind:     hidden_global_offset_z
      - .offset:         104
        .size:           2
        .value_kind:     hidden_grid_dims
    .group_segment_fixed_size: 0
    .kernarg_segment_align: 8
    .kernarg_segment_size: 296
    .language:       OpenCL C
    .language_version:
      - 2
      - 0
    .max_flat_workgroup_size: 256
    .name:           _ZN2ck17naive_gemm_kernelINS_13tensor_layout4gemm11ColumnMajorENS2_8RowMajorES4_ffffNS_16tensor_operation12element_wise11PassThroughES7_S7_ffEEvPKT2_PKT3_PT4_iiiT6_T7_T8_
    .private_segment_fixed_size: 0
    .sgpr_count:     18
    .sgpr_spill_count: 0
    .symbol:         _ZN2ck17naive_gemm_kernelINS_13tensor_layout4gemm11ColumnMajorENS2_8RowMajorES4_ffffNS_16tensor_operation12element_wise11PassThroughES7_S7_ffEEvPKT2_PKT3_PT4_iiiT6_T7_T8_.kd
    .uniform_work_group_size: 1
    .uses_dynamic_stack: false
    .vgpr_count:     11
    .vgpr_spill_count: 0
    .wavefront_size: 32
    .workgroup_processor_mode: 1
amdhsa.target:   amdgcn-amd-amdhsa--gfx1100
amdhsa.version:
  - 1
  - 2
...

	.end_amdgpu_metadata
